;; amdgpu-corpus repo=ROCm/rocFFT kind=compiled arch=gfx906 opt=O3
	.text
	.amdgcn_target "amdgcn-amd-amdhsa--gfx906"
	.amdhsa_code_object_version 6
	.protected	bluestein_single_back_len1092_dim1_dp_op_CI_CI ; -- Begin function bluestein_single_back_len1092_dim1_dp_op_CI_CI
	.globl	bluestein_single_back_len1092_dim1_dp_op_CI_CI
	.p2align	8
	.type	bluestein_single_back_len1092_dim1_dp_op_CI_CI,@function
bluestein_single_back_len1092_dim1_dp_op_CI_CI: ; @bluestein_single_back_len1092_dim1_dp_op_CI_CI
; %bb.0:
	s_load_dwordx4 s[12:15], s[4:5], 0x28
	s_mov_b64 s[58:59], s[2:3]
	v_mul_u32_u24_e32 v1, 0x4ed, v0
	s_mov_b64 s[56:57], s[0:1]
	v_add_u32_sdwa v4, s6, v1 dst_sel:DWORD dst_unused:UNUSED_PAD src0_sel:DWORD src1_sel:WORD_1
	v_mov_b32_e32 v5, 0
	s_add_u32 s56, s56, s7
	s_waitcnt lgkmcnt(0)
	v_cmp_gt_u64_e32 vcc, s[12:13], v[4:5]
	s_addc_u32 s57, s57, 0
	s_and_saveexec_b64 s[0:1], vcc
	s_cbranch_execz .LBB0_31
; %bb.1:
	s_load_dwordx4 s[0:3], s[4:5], 0x18
	s_load_dwordx2 s[16:17], s[4:5], 0x0
	v_mov_b32_e32 v2, 52
	v_mul_lo_u16_sdwa v1, v1, v2 dst_sel:DWORD dst_unused:UNUSED_PAD src0_sel:WORD_1 src1_sel:DWORD
	v_sub_u16_e32 v199, v0, v1
	s_waitcnt lgkmcnt(0)
	s_load_dwordx4 s[8:11], s[0:1], 0x0
	v_mov_b32_e32 v5, v4
	buffer_store_dword v5, off, s[56:59], 0 offset:112 ; 4-byte Folded Spill
	s_nop 0
	buffer_store_dword v6, off, s[56:59], 0 offset:116 ; 4-byte Folded Spill
	v_lshlrev_b32_e32 v196, 4, v199
	v_add_co_u32_e64 v52, s[6:7], s16, v196
	s_waitcnt lgkmcnt(0)
	v_mad_u64_u32 v[0:1], s[0:1], s10, v4, 0
	v_mad_u64_u32 v[2:3], s[0:1], s8, v199, 0
	;; [unrolled: 1-line block ×4, first 2 shown]
	v_mov_b32_e32 v1, v4
	v_lshlrev_b64 v[0:1], 4, v[0:1]
	v_mov_b32_e32 v6, s15
	v_mov_b32_e32 v3, v5
	v_add_co_u32_e32 v4, vcc, s14, v0
	v_addc_co_u32_e32 v5, vcc, v6, v1, vcc
	v_lshlrev_b64 v[0:1], 4, v[2:3]
	s_mul_i32 s0, s9, 0x222
	s_mul_hi_u32 s1, s8, 0x222
	v_add_co_u32_e32 v8, vcc, v4, v0
	v_mov_b32_e32 v0, s17
	s_add_i32 s1, s1, s0
	s_mul_i32 s0, s8, 0x222
	v_addc_co_u32_e32 v9, vcc, v5, v1, vcc
	v_addc_co_u32_e64 v53, vcc, 0, v0, s[6:7]
	s_lshl_b64 s[14:15], s[0:1], 4
	v_mov_b32_e32 v13, s15
	v_add_co_u32_e32 v10, vcc, s14, v8
	v_addc_co_u32_e32 v11, vcc, v9, v13, vcc
	s_movk_i32 s0, 0x2000
	s_mul_hi_u32 s1, s8, 0xfffffe12
	v_add_co_u32_e32 v42, vcc, s0, v52
	s_mul_i32 s0, s9, 0xfffffe12
	s_sub_i32 s1, s1, s8
	s_add_i32 s1, s1, s0
	s_mul_i32 s0, s8, 0xfffffe12
	v_addc_co_u32_e32 v43, vcc, 0, v53, vcc
	s_lshl_b64 s[18:19], s[0:1], 4
	v_mov_b32_e32 v12, s19
	v_add_co_u32_e32 v14, vcc, s18, v10
	v_addc_co_u32_e32 v15, vcc, v11, v12, vcc
	global_load_dwordx4 v[0:3], v[8:9], off
	global_load_dwordx4 v[4:7], v[10:11], off
	global_load_dwordx4 v[114:117], v[42:43], off offset:544
	s_nop 0
	global_load_dwordx4 v[8:11], v[14:15], off
	global_load_dwordx4 v[170:173], v196, s[16:17]
	global_load_dwordx4 v[158:161], v196, s[16:17] offset:832
	v_add_co_u32_e32 v18, vcc, s14, v14
	v_addc_co_u32_e32 v19, vcc, v15, v13, vcc
	global_load_dwordx4 v[150:153], v[42:43], off offset:1376
	global_load_dwordx4 v[14:17], v[18:19], off
	global_load_dwordx4 v[106:109], v196, s[16:17] offset:1664
	global_load_dwordx4 v[134:137], v196, s[16:17] offset:2496
	global_load_dwordx4 v[142:145], v[42:43], off offset:2208
	global_load_dwordx4 v[126:129], v[42:43], off offset:3040
	v_add_co_u32_e32 v21, vcc, s18, v18
	v_addc_co_u32_e32 v22, vcc, v19, v12, vcc
	v_add_co_u32_e32 v25, vcc, s14, v21
	v_addc_co_u32_e32 v26, vcc, v22, v13, vcc
	v_add_co_u32_e32 v29, vcc, s18, v25
	v_addc_co_u32_e32 v30, vcc, v26, v12, vcc
	v_add_co_u32_e32 v33, vcc, s14, v29
	v_addc_co_u32_e32 v34, vcc, v30, v13, vcc
	v_add_co_u32_e32 v38, vcc, s18, v33
	v_addc_co_u32_e32 v39, vcc, v34, v12, vcc
	v_add_co_u32_e32 v44, vcc, s14, v38
	v_addc_co_u32_e32 v45, vcc, v39, v13, vcc
	v_add_co_u32_e32 v46, vcc, s18, v44
	v_addc_co_u32_e32 v47, vcc, v45, v12, vcc
	s_movk_i32 s0, 0x1000
	v_add_co_u32_e32 v78, vcc, s0, v52
	v_addc_co_u32_e32 v79, vcc, 0, v53, vcc
	v_add_co_u32_e32 v50, vcc, s14, v46
	v_addc_co_u32_e32 v51, vcc, v47, v13, vcc
	s_movk_i32 s0, 0x3000
	v_add_co_u32_e32 v96, vcc, s0, v52
	v_addc_co_u32_e32 v97, vcc, 0, v53, vcc
	v_add_co_u32_e32 v54, vcc, s18, v50
	v_addc_co_u32_e32 v55, vcc, v51, v12, vcc
	;; [unrolled: 2-line block ×8, first 2 shown]
	v_add_co_u32_e32 v12, vcc, s14, v80
	global_load_dwordx4 v[18:21], v[21:22], off
	s_waitcnt vmcnt(8)
	v_mul_f64 v[82:83], v[2:3], v[172:173]
	v_mul_f64 v[86:87], v[6:7], v[116:117]
	s_waitcnt vmcnt(7)
	v_mul_f64 v[90:91], v[10:11], v[160:161]
	s_waitcnt vmcnt(5)
	v_mul_f64 v[94:95], v[16:17], v[152:153]
	global_load_dwordx4 v[22:25], v[25:26], off
	v_addc_co_u32_e32 v13, vcc, v81, v13, vcc
	global_load_dwordx4 v[26:29], v[29:30], off
	v_mul_f64 v[84:85], v[0:1], v[172:173]
	global_load_dwordx4 v[30:33], v[33:34], off
	v_fma_f64 v[0:1], v[0:1], v[170:171], v[82:83]
	global_load_dwordx4 v[34:37], v[38:39], off
	global_load_dwordx4 v[138:141], v196, s[16:17] offset:3328
	s_nop 0
	global_load_dwordx4 v[38:41], v[44:45], off
	global_load_dwordx4 v[122:125], v[42:43], off offset:3872
	global_load_dwordx4 v[162:165], v[96:97], off offset:608
	v_mul_f64 v[88:89], v[4:5], v[116:117]
	buffer_store_dword v52, off, s[56:59], 0 offset:4 ; 4-byte Folded Spill
	buffer_store_dword v53, off, s[56:59], 0 offset:108 ; 4-byte Folded Spill
	global_load_dwordx4 v[42:45], v[46:47], off
	v_fma_f64 v[4:5], v[4:5], v[114:115], v[86:87]
	global_load_dwordx4 v[46:49], v[50:51], off
	s_nop 0
	global_load_dwordx4 v[50:53], v[54:55], off
	global_load_dwordx4 v[174:177], v[78:79], off offset:64
	global_load_dwordx4 v[130:133], v[78:79], off offset:896
	s_nop 0
	global_load_dwordx4 v[54:57], v[58:59], off
	global_load_dwordx4 v[118:121], v[96:97], off offset:1440
	v_mul_f64 v[92:93], v[8:9], v[160:161]
	global_load_dwordx4 v[58:61], v[62:63], off
	s_nop 0
	global_load_dwordx4 v[62:65], v[66:67], off
	global_load_dwordx4 v[146:149], v[96:97], off offset:2272
	s_nop 0
	global_load_dwordx4 v[66:69], v[70:71], off
	global_load_dwordx4 v[166:169], v[78:79], off offset:1728
	global_load_dwordx4 v[102:105], v[78:79], off offset:2560
	s_nop 0
	global_load_dwordx4 v[70:73], v[74:75], off
	global_load_dwordx4 v[98:101], v[96:97], off offset:3104
	s_nop 0
	global_load_dwordx4 v[74:77], v[80:81], off
	;; [unrolled: 3-line block ×3, first 2 shown]
	global_load_dwordx4 v[154:157], v[96:97], off offset:3936
	s_nop 0
	buffer_store_dword v170, off, s[56:59], 0 offset:408 ; 4-byte Folded Spill
	s_nop 0
	buffer_store_dword v171, off, s[56:59], 0 offset:412 ; 4-byte Folded Spill
	buffer_store_dword v172, off, s[56:59], 0 offset:416 ; 4-byte Folded Spill
	;; [unrolled: 1-line block ×4, first 2 shown]
	s_nop 0
	buffer_store_dword v115, off, s[56:59], 0 offset:188 ; 4-byte Folded Spill
	buffer_store_dword v116, off, s[56:59], 0 offset:192 ; 4-byte Folded Spill
	;; [unrolled: 1-line block ×3, first 2 shown]
	v_fma_f64 v[8:9], v[8:9], v[158:159], v[90:91]
	buffer_store_dword v158, off, s[56:59], 0 offset:360 ; 4-byte Folded Spill
	s_nop 0
	buffer_store_dword v159, off, s[56:59], 0 offset:364 ; 4-byte Folded Spill
	buffer_store_dword v160, off, s[56:59], 0 offset:368 ; 4-byte Folded Spill
	;; [unrolled: 1-line block ×3, first 2 shown]
	v_mul_f64 v[96:97], v[14:15], v[152:153]
	v_fma_f64 v[14:15], v[14:15], v[150:151], v[94:95]
	buffer_store_dword v150, off, s[56:59], 0 offset:328 ; 4-byte Folded Spill
	s_nop 0
	buffer_store_dword v151, off, s[56:59], 0 offset:332 ; 4-byte Folded Spill
	buffer_store_dword v152, off, s[56:59], 0 offset:336 ; 4-byte Folded Spill
	buffer_store_dword v153, off, s[56:59], 0 offset:340 ; 4-byte Folded Spill
	s_load_dwordx2 s[12:13], s[4:5], 0x38
	s_load_dwordx4 s[8:11], s[2:3], 0x0
	v_cmp_gt_u16_e64 s[0:1], 26, v199
	v_fma_f64 v[2:3], v[2:3], v[170:171], -v[84:85]
	v_fma_f64 v[6:7], v[6:7], v[114:115], -v[88:89]
	;; [unrolled: 1-line block ×4, first 2 shown]
	ds_write_b128 v196, v[0:3]
	ds_write_b128 v196, v[4:7] offset:8736
	ds_write_b128 v196, v[8:11] offset:832
	ds_write_b128 v196, v[14:17] offset:9568
	s_waitcnt vmcnt(45)
	v_mul_f64 v[0:1], v[20:21], v[108:109]
	s_waitcnt vmcnt(44)
	v_mul_f64 v[4:5], v[24:25], v[144:145]
	;; [unrolled: 2-line block ×4, first 2 shown]
	v_mul_f64 v[2:3], v[18:19], v[108:109]
	v_mul_f64 v[6:7], v[22:23], v[144:145]
	;; [unrolled: 1-line block ×4, first 2 shown]
	v_fma_f64 v[0:1], v[18:19], v[106:107], v[0:1]
	buffer_store_dword v106, off, s[56:59], 0 offset:152 ; 4-byte Folded Spill
	s_nop 0
	buffer_store_dword v107, off, s[56:59], 0 offset:156 ; 4-byte Folded Spill
	buffer_store_dword v108, off, s[56:59], 0 offset:160 ; 4-byte Folded Spill
	buffer_store_dword v109, off, s[56:59], 0 offset:164 ; 4-byte Folded Spill
	v_fma_f64 v[4:5], v[22:23], v[142:143], v[4:5]
	buffer_store_dword v142, off, s[56:59], 0 offset:296 ; 4-byte Folded Spill
	s_nop 0
	buffer_store_dword v143, off, s[56:59], 0 offset:300 ; 4-byte Folded Spill
	buffer_store_dword v144, off, s[56:59], 0 offset:304 ; 4-byte Folded Spill
	buffer_store_dword v145, off, s[56:59], 0 offset:308 ; 4-byte Folded Spill
	;; [unrolled: 6-line block ×4, first 2 shown]
	s_waitcnt vmcnt(56)
	v_mul_f64 v[18:19], v[36:37], v[140:141]
	s_waitcnt vmcnt(54)
	v_mul_f64 v[22:23], v[40:41], v[124:125]
	;; [unrolled: 2-line block ×3, first 2 shown]
	v_mul_f64 v[30:31], v[48:49], v[164:165]
	v_fma_f64 v[18:19], v[34:35], v[138:139], v[18:19]
	v_fma_f64 v[22:23], v[38:39], v[122:123], v[22:23]
	;; [unrolled: 1-line block ×4, first 2 shown]
	v_fma_f64 v[2:3], v[20:21], v[106:107], -v[2:3]
	v_mul_f64 v[20:21], v[34:35], v[140:141]
	buffer_store_dword v138, off, s[56:59], 0 offset:280 ; 4-byte Folded Spill
	s_nop 0
	buffer_store_dword v139, off, s[56:59], 0 offset:284 ; 4-byte Folded Spill
	buffer_store_dword v140, off, s[56:59], 0 offset:288 ; 4-byte Folded Spill
	buffer_store_dword v141, off, s[56:59], 0 offset:292 ; 4-byte Folded Spill
	v_fma_f64 v[6:7], v[24:25], v[142:143], -v[6:7]
	v_mul_f64 v[24:25], v[38:39], v[124:125]
	buffer_store_dword v122, off, s[56:59], 0 offset:216 ; 4-byte Folded Spill
	s_nop 0
	buffer_store_dword v123, off, s[56:59], 0 offset:220 ; 4-byte Folded Spill
	buffer_store_dword v124, off, s[56:59], 0 offset:224 ; 4-byte Folded Spill
	buffer_store_dword v125, off, s[56:59], 0 offset:228 ; 4-byte Folded Spill
	;; [unrolled: 7-line block ×4, first 2 shown]
	v_fma_f64 v[20:21], v[36:37], v[138:139], -v[20:21]
	v_fma_f64 v[24:25], v[40:41], v[122:123], -v[24:25]
	v_fma_f64 v[28:29], v[44:45], v[174:175], -v[28:29]
	v_fma_f64 v[32:33], v[48:49], v[162:163], -v[32:33]
	ds_write_b128 v196, v[0:3] offset:1664
	ds_write_b128 v196, v[4:7] offset:10400
	;; [unrolled: 1-line block ×8, first 2 shown]
	s_waitcnt vmcnt(62)
	v_mul_f64 v[0:1], v[52:53], v[132:133]
	s_waitcnt vmcnt(60)
	v_mul_f64 v[4:5], v[56:57], v[120:121]
	s_waitcnt vmcnt(55)
	v_mul_f64 v[8:9], v[60:61], v[168:169]
	v_mul_f64 v[14:15], v[64:65], v[148:149]
	s_waitcnt vmcnt(54)
	v_mul_f64 v[18:19], v[68:69], v[104:105]
	s_waitcnt vmcnt(52)
	;; [unrolled: 2-line block ×4, first 2 shown]
	v_mul_f64 v[30:31], v[80:81], v[156:157]
	v_mul_f64 v[2:3], v[50:51], v[132:133]
	v_fma_f64 v[0:1], v[50:51], v[130:131], v[0:1]
	buffer_store_dword v130, off, s[56:59], 0 offset:248 ; 4-byte Folded Spill
	s_nop 0
	buffer_store_dword v131, off, s[56:59], 0 offset:252 ; 4-byte Folded Spill
	buffer_store_dword v132, off, s[56:59], 0 offset:256 ; 4-byte Folded Spill
	buffer_store_dword v133, off, s[56:59], 0 offset:260 ; 4-byte Folded Spill
	v_mul_f64 v[6:7], v[54:55], v[120:121]
	v_fma_f64 v[4:5], v[54:55], v[118:119], v[4:5]
	buffer_store_dword v118, off, s[56:59], 0 offset:200 ; 4-byte Folded Spill
	s_nop 0
	buffer_store_dword v119, off, s[56:59], 0 offset:204 ; 4-byte Folded Spill
	buffer_store_dword v120, off, s[56:59], 0 offset:208 ; 4-byte Folded Spill
	buffer_store_dword v121, off, s[56:59], 0 offset:212 ; 4-byte Folded Spill
	;; [unrolled: 7-line block ×8, first 2 shown]
	v_fma_f64 v[2:3], v[52:53], v[130:131], -v[2:3]
	v_fma_f64 v[6:7], v[56:57], v[118:119], -v[6:7]
	;; [unrolled: 1-line block ×8, first 2 shown]
	ds_write_b128 v196, v[0:3] offset:4992
	ds_write_b128 v196, v[4:7] offset:13728
	ds_write_b128 v196, v[8:11] offset:5824
	ds_write_b128 v196, v[14:17] offset:14560
	ds_write_b128 v196, v[18:21] offset:6656
	ds_write_b128 v196, v[22:25] offset:15392
	ds_write_b128 v196, v[26:29] offset:7488
	ds_write_b128 v196, v[30:33] offset:16224
	s_and_saveexec_b64 s[2:3], s[0:1]
	s_cbranch_execz .LBB0_3
; %bb.2:
	buffer_load_dword v11, off, s[56:59], 0 offset:4 ; 4-byte Folded Reload
	v_add_co_u32_e32 v8, vcc, s18, v12
	buffer_load_dword v12, off, s[56:59], 0 offset:108 ; 4-byte Folded Reload
	v_mov_b32_e32 v0, s19
	v_addc_co_u32_e32 v9, vcc, v13, v0, vcc
	v_mov_b32_e32 v10, s15
	global_load_dwordx4 v[0:3], v[8:9], off
	s_waitcnt vmcnt(2)
	v_add_co_u32_e32 v4, vcc, 0x2000, v11
	s_waitcnt vmcnt(1)
	v_addc_co_u32_e32 v5, vcc, 0, v12, vcc
	v_add_co_u32_e32 v16, vcc, s14, v8
	v_addc_co_u32_e32 v17, vcc, v9, v10, vcc
	s_movk_i32 s14, 0x4000
	v_add_co_u32_e32 v18, vcc, s14, v11
	global_load_dwordx4 v[4:7], v[4:5], off offset:128
	v_addc_co_u32_e32 v19, vcc, 0, v12, vcc
	global_load_dwordx4 v[8:11], v[18:19], off offset:672
	global_load_dwordx4 v[12:15], v[16:17], off
	s_waitcnt vmcnt(2)
	v_mul_f64 v[16:17], v[2:3], v[6:7]
	v_mul_f64 v[6:7], v[0:1], v[6:7]
	s_waitcnt vmcnt(0)
	v_mul_f64 v[18:19], v[14:15], v[10:11]
	v_mul_f64 v[10:11], v[12:13], v[10:11]
	v_fma_f64 v[0:1], v[0:1], v[4:5], v[16:17]
	v_fma_f64 v[2:3], v[2:3], v[4:5], -v[6:7]
	v_fma_f64 v[4:5], v[12:13], v[8:9], v[18:19]
	v_fma_f64 v[6:7], v[14:15], v[8:9], -v[10:11]
	ds_write_b128 v196, v[0:3] offset:8320
	ds_write_b128 v196, v[4:7] offset:17056
.LBB0_3:
	s_or_b64 exec, exec, s[2:3]
	s_waitcnt lgkmcnt(0)
	; wave barrier
	s_waitcnt lgkmcnt(0)
	ds_read_b128 v[68:71], v196
	ds_read_b128 v[72:75], v196 offset:832
	ds_read_b128 v[84:87], v196 offset:8736
	;; [unrolled: 1-line block ×19, first 2 shown]
                                        ; implicit-def: $vgpr16_vgpr17
                                        ; implicit-def: $vgpr20_vgpr21
	s_and_saveexec_b64 s[2:3], s[0:1]
	s_cbranch_execz .LBB0_5
; %bb.4:
	ds_read_b128 v[16:19], v196 offset:8320
	ds_read_b128 v[20:23], v196 offset:17056
.LBB0_5:
	s_or_b64 exec, exec, s[2:3]
	s_waitcnt lgkmcnt(14)
	v_add_f64 v[84:85], v[68:69], -v[84:85]
	v_add_f64 v[86:87], v[70:71], -v[86:87]
	;; [unrolled: 1-line block ×4, first 2 shown]
	s_waitcnt lgkmcnt(13)
	v_add_f64 v[88:89], v[64:65], -v[76:77]
	v_add_f64 v[90:91], v[66:67], -v[78:79]
	s_waitcnt lgkmcnt(12)
	v_add_f64 v[60:61], v[36:37], -v[60:61]
	v_add_f64 v[62:63], v[38:39], -v[62:63]
	;; [unrolled: 3-line block ×5, first 2 shown]
	s_waitcnt lgkmcnt(4)
	v_add_f64 v[28:29], v[4:5], -v[28:29]
	s_waitcnt lgkmcnt(1)
	v_add_f64 v[24:25], v[8:9], -v[24:25]
	v_add_f64 v[26:27], v[10:11], -v[26:27]
	s_waitcnt lgkmcnt(0)
	v_add_f64 v[96:97], v[12:13], -v[0:1]
	v_add_f64 v[0:1], v[16:17], -v[20:21]
	v_fma_f64 v[68:69], v[68:69], 2.0, -v[84:85]
	v_fma_f64 v[70:71], v[70:71], 2.0, -v[86:87]
	v_add_f64 v[30:31], v[6:7], -v[30:31]
	v_fma_f64 v[72:73], v[72:73], 2.0, -v[80:81]
	v_fma_f64 v[74:75], v[74:75], 2.0, -v[82:83]
	v_add_f64 v[98:99], v[14:15], -v[2:3]
	v_add_f64 v[2:3], v[18:19], -v[22:23]
	v_fma_f64 v[64:65], v[64:65], 2.0, -v[88:89]
	v_fma_f64 v[66:67], v[66:67], 2.0, -v[90:91]
	v_fma_f64 v[36:37], v[36:37], 2.0, -v[60:61]
	v_fma_f64 v[38:39], v[38:39], 2.0, -v[62:63]
	v_fma_f64 v[92:93], v[40:41], 2.0, -v[56:57]
	v_fma_f64 v[94:95], v[42:43], 2.0, -v[58:59]
	v_fma_f64 v[43:44], v[44:45], 2.0, -v[52:53]
	v_fma_f64 v[45:46], v[46:47], 2.0, -v[54:55]
	v_fma_f64 v[32:33], v[32:33], 2.0, -v[48:49]
	v_fma_f64 v[34:35], v[34:35], 2.0, -v[50:51]
	v_add_co_u32_e32 v104, vcc, 52, v199
	s_movk_i32 s2, 0x68
	v_fma_f64 v[20:21], v[4:5], 2.0, -v[28:29]
	v_fma_f64 v[8:9], v[8:9], 2.0, -v[24:25]
	;; [unrolled: 1-line block ×4, first 2 shown]
	v_lshlrev_b32_e32 v16, 5, v199
	v_add_co_u32_e32 v103, vcc, s2, v199
	v_lshlrev_b32_e32 v132, 1, v199
	v_fma_f64 v[22:23], v[6:7], 2.0, -v[30:31]
	s_waitcnt lgkmcnt(0)
	; wave barrier
	ds_write_b128 v16, v[68:71]
	buffer_store_dword v16, off, s[56:59], 0 offset:616 ; 4-byte Folded Spill
	ds_write_b128 v16, v[84:87] offset:16
	v_lshlrev_b32_e32 v16, 5, v104
	s_movk_i32 s2, 0xd0
	v_fma_f64 v[12:13], v[12:13], 2.0, -v[96:97]
	v_fma_f64 v[14:15], v[14:15], 2.0, -v[98:99]
	;; [unrolled: 1-line block ×3, first 2 shown]
	ds_write_b128 v16, v[72:75]
	buffer_store_dword v16, off, s[56:59], 0 offset:620 ; 4-byte Folded Spill
	ds_write_b128 v16, v[80:83] offset:16
	v_lshlrev_b32_e32 v16, 5, v103
	v_add_u32_e32 v41, 0x138, v132
	v_add_co_u32_e32 v100, vcc, s2, v199
	s_movk_i32 s2, 0x104
	ds_write_b128 v16, v[64:67]
	buffer_store_dword v16, off, s[56:59], 0 offset:624 ; 4-byte Folded Spill
	ds_write_b128 v16, v[88:91] offset:16
	v_lshlrev_b32_e32 v16, 4, v41
	v_add_co_u32_e32 v101, vcc, s2, v199
	s_movk_i32 s2, 0x138
	v_lshlrev_b32_e32 v17, 4, v132
	buffer_store_dword v16, off, s[56:59], 0 offset:12 ; 4-byte Folded Spill
	ds_write_b128 v16, v[60:63] offset:16
	v_lshlrev_b32_e32 v16, 5, v100
	s_load_dwordx2 s[4:5], s[4:5], 0x8
	v_add_co_u32_e32 v102, vcc, s2, v199
	ds_write_b128 v17, v[36:39] offset:4992
	ds_write_b128 v16, v[92:95]
	buffer_store_dword v16, off, s[56:59], 0 offset:16 ; 4-byte Folded Spill
	ds_write_b128 v16, v[56:59] offset:16
	v_lshlrev_b32_e32 v16, 5, v101
	ds_write_b128 v16, v[43:46]
	buffer_store_dword v16, off, s[56:59], 0 offset:20 ; 4-byte Folded Spill
	ds_write_b128 v16, v[52:55] offset:16
	v_lshlrev_b32_e32 v16, 5, v102
	v_add_u32_e32 v39, 0x2d8, v132
	s_movk_i32 s2, 0x208
	ds_write_b128 v16, v[32:35]
	buffer_store_dword v16, off, s[56:59], 0 offset:24 ; 4-byte Folded Spill
	ds_write_b128 v16, v[48:51] offset:16
	v_lshlrev_b32_e32 v16, 4, v39
	v_add_u32_e32 v40, 0x340, v132
	v_add_u32_e32 v36, 0x3a8, v132
	v_add_co_u32_e32 v76, vcc, s2, v199
	buffer_store_dword v16, off, s[56:59], 0 offset:636 ; 4-byte Folded Spill
	ds_write_b128 v16, v[28:31] offset:16
	v_lshlrev_b32_e32 v16, 4, v40
	ds_write_b128 v17, v[8:11] offset:13312
	v_lshlrev_b32_e32 v8, 4, v36
	v_lshlrev_b32_e32 v68, 1, v104
	;; [unrolled: 1-line block ×6, first 2 shown]
	ds_write_b128 v17, v[20:23] offset:11648
	ds_write_b128 v16, v[24:27] offset:16
	buffer_store_dword v8, off, s[56:59], 0 offset:652 ; 4-byte Folded Spill
	ds_write_b128 v8, v[96:99] offset:16
	v_lshlrev_b32_e32 v8, 5, v76
	buffer_store_dword v104, off, s[56:59], 0 offset:440 ; 4-byte Folded Spill
	buffer_store_dword v103, off, s[56:59], 0 offset:444 ; 4-byte Folded Spill
	;; [unrolled: 1-line block ×4, first 2 shown]
	ds_write_b128 v17, v[12:15] offset:14976
	buffer_store_dword v8, off, s[56:59], 0 offset:736 ; 4-byte Folded Spill
	s_and_saveexec_b64 s[2:3], s[0:1]
	s_cbranch_execz .LBB0_7
; %bb.6:
	v_lshlrev_b32_e32 v8, 5, v76
	ds_write_b128 v8, v[4:7]
	ds_write_b128 v8, v[0:3] offset:16
.LBB0_7:
	s_or_b64 exec, exec, s[2:3]
	s_waitcnt lgkmcnt(0)
	; wave barrier
	s_waitcnt lgkmcnt(0)
	ds_read_b128 v[8:11], v196
	ds_read_b128 v[16:19], v196 offset:832
	ds_read_b128 v[20:23], v196 offset:8736
	;; [unrolled: 1-line block ×19, first 2 shown]
	s_and_saveexec_b64 s[2:3], s[0:1]
	s_cbranch_execz .LBB0_9
; %bb.8:
	ds_read_b128 v[4:7], v196 offset:8320
	ds_read_b128 v[0:3], v196 offset:17056
.LBB0_9:
	s_or_b64 exec, exec, s[2:3]
	v_and_b32_e32 v75, 1, v199
	v_lshlrev_b32_e32 v43, 4, v75
	global_load_dwordx4 v[248:251], v43, s[4:5]
	s_movk_i32 s2, 0x7c
	s_movk_i32 s3, 0xfc
	;; [unrolled: 1-line block ×4, first 2 shown]
	v_and_or_b32 v43, v132, s2, v75
	v_and_or_b32 v44, v68, s3, v75
	;; [unrolled: 1-line block ×5, first 2 shown]
	v_lshlrev_b32_e32 v144, 4, v43
	v_lshlrev_b32_e32 v143, 4, v44
	;; [unrolled: 1-line block ×4, first 2 shown]
	buffer_store_dword v47, off, s[56:59], 0 offset:664 ; 4-byte Folded Spill
	v_lshlrev_b32_e32 v142, 4, v45
	buffer_store_dword v68, off, s[56:59], 0 offset:580 ; 4-byte Folded Spill
	s_movk_i32 s2, 0x2fc
	s_waitcnt lgkmcnt(0)
	; wave barrier
	s_waitcnt lgkmcnt(0)
	buffer_store_dword v144, off, s[56:59], 0 offset:612 ; 4-byte Folded Spill
	s_waitcnt vmcnt(3)
	v_mul_f64 v[41:42], v[22:23], v[250:251]
	v_mul_f64 v[43:44], v[20:21], v[250:251]
	;; [unrolled: 1-line block ×21, first 2 shown]
	v_fma_f64 v[20:21], v[20:21], v[248:249], -v[41:42]
	v_fma_f64 v[22:23], v[22:23], v[248:249], v[43:44]
	v_fma_f64 v[57:58], v[112:113], v[248:249], -v[57:58]
	v_fma_f64 v[59:60], v[114:115], v[248:249], v[59:60]
	;; [unrolled: 2-line block ×3, first 2 shown]
	v_mul_f64 v[138:139], v[0:1], v[250:251]
	v_fma_f64 v[12:13], v[12:13], v[248:249], -v[45:46]
	v_fma_f64 v[14:15], v[14:15], v[248:249], v[47:48]
	v_fma_f64 v[49:50], v[104:105], v[248:249], -v[49:50]
	v_fma_f64 v[51:52], v[106:107], v[248:249], v[51:52]
	;; [unrolled: 2-line block ×6, first 2 shown]
	v_fma_f64 v[108:109], v[0:1], v[248:249], -v[136:137]
	v_fma_f64 v[104:105], v[124:125], v[248:249], -v[132:133]
	v_fma_f64 v[106:107], v[126:127], v[248:249], v[134:135]
	v_add_f64 v[41:42], v[8:9], -v[20:21]
	v_add_f64 v[43:44], v[10:11], -v[22:23]
	;; [unrolled: 1-line block ×6, first 2 shown]
	v_fma_f64 v[110:111], v[2:3], v[248:249], v[138:139]
	v_add_f64 v[45:46], v[16:17], -v[12:13]
	v_add_f64 v[47:48], v[18:19], -v[14:15]
	;; [unrolled: 1-line block ×15, first 2 shown]
	v_fma_f64 v[65:66], v[8:9], 2.0, -v[41:42]
	v_fma_f64 v[67:68], v[10:11], 2.0, -v[43:44]
	;; [unrolled: 1-line block ×6, first 2 shown]
	v_add_f64 v[30:31], v[6:7], -v[110:111]
	v_fma_f64 v[69:70], v[16:17], 2.0, -v[45:46]
	v_fma_f64 v[71:72], v[18:19], 2.0, -v[47:48]
	;; [unrolled: 1-line block ×13, first 2 shown]
	v_and_or_b32 v4, v37, s2, v75
	v_lshlrev_b32_e32 v4, 4, v4
	v_fma_f64 v[24:25], v[100:101], 2.0, -v[20:21]
	v_fma_f64 v[26:27], v[102:103], 2.0, -v[22:23]
	ds_write_b128 v144, v[41:44] offset:32
	ds_write_b128 v144, v[65:68]
	ds_write_b128 v143, v[69:72]
	buffer_store_dword v143, off, s[56:59], 0 offset:608 ; 4-byte Folded Spill
	ds_write_b128 v143, v[45:48] offset:32
	ds_write_b128 v142, v[104:107]
	buffer_store_dword v142, off, s[56:59], 0 offset:604 ; 4-byte Folded Spill
	ds_write_b128 v142, v[49:52] offset:32
	;; [unrolled: 3-line block ×3, first 2 shown]
	ds_write_b128 v140, v[77:80]
	ds_write_b128 v140, v[57:60] offset:32
	ds_write_b128 v4, v[81:84]
	buffer_store_dword v4, off, s[56:59], 0 offset:628 ; 4-byte Folded Spill
	ds_write_b128 v4, v[61:64] offset:32
	v_and_or_b32 v4, v38, s2, v75
	v_fma_f64 v[34:35], v[6:7], 2.0, -v[30:31]
	v_lshlrev_b32_e32 v4, 4, v4
	ds_write_b128 v4, v[85:88]
	buffer_store_dword v4, off, s[56:59], 0 offset:632 ; 4-byte Folded Spill
	ds_write_b128 v4, v[128:131] offset:32
	v_and_or_b32 v4, v39, s15, v75
	v_lshlrev_b32_e32 v4, 4, v4
	ds_write_b128 v4, v[8:11]
	buffer_store_dword v4, off, s[56:59], 0 offset:640 ; 4-byte Folded Spill
	ds_write_b128 v4, v[0:3] offset:32
	v_and_or_b32 v4, v40, s15, v75
	v_lshlrev_b32_e32 v4, 4, v4
	s_movk_i32 s2, 0x7fc
	ds_write_b128 v4, v[16:19]
	buffer_store_dword v4, off, s[56:59], 0 offset:648 ; 4-byte Folded Spill
	ds_write_b128 v4, v[12:15] offset:32
	v_and_or_b32 v4, v36, s2, v75
	v_lshlrev_b32_e32 v4, 4, v4
	ds_write_b128 v4, v[24:27]
	buffer_store_dword v4, off, s[56:59], 0 offset:656 ; 4-byte Folded Spill
	ds_write_b128 v4, v[20:23] offset:32
	v_lshlrev_b32_e32 v4, 1, v76
	buffer_store_dword v140, off, s[56:59], 0 offset:596 ; 4-byte Folded Spill
	buffer_store_dword v75, off, s[56:59], 0 offset:732 ; 4-byte Folded Spill
	;; [unrolled: 1-line block ×3, first 2 shown]
	s_and_saveexec_b64 s[2:3], s[0:1]
	s_cbranch_execz .LBB0_11
; %bb.10:
	buffer_load_dword v5, off, s[56:59], 0 offset:660 ; 4-byte Folded Reload
	s_movk_i32 s14, 0x47c
	v_and_b32_e32 v4, 1, v199
	s_waitcnt vmcnt(0)
	v_and_or_b32 v4, v5, s14, v4
	v_lshlrev_b32_e32 v4, 4, v4
	ds_write_b128 v4, v[32:35]
	ds_write_b128 v4, v[28:31] offset:32
.LBB0_11:
	s_or_b64 exec, exec, s[2:3]
	s_waitcnt lgkmcnt(0)
	; wave barrier
	s_waitcnt lgkmcnt(0)
	ds_read_b128 v[4:7], v196
	ds_read_b128 v[176:179], v196 offset:1344
	ds_read_b128 v[172:175], v196 offset:2688
	ds_read_b128 v[168:171], v196 offset:4032
	ds_read_b128 v[164:167], v196 offset:5376
	ds_read_b128 v[160:163], v196 offset:6720
	ds_read_b128 v[156:159], v196 offset:8064
	ds_read_b128 v[152:155], v196 offset:9408
	ds_read_b128 v[148:151], v196 offset:10752
	ds_read_b128 v[144:147], v196 offset:12096
	ds_read_b128 v[140:143], v196 offset:13440
	ds_read_b128 v[136:139], v196 offset:14784
	ds_read_b128 v[200:203], v196 offset:16128
	v_cmp_gt_u16_e64 s[2:3], 32, v199
                                        ; implicit-def: $vgpr180_vgpr181
                                        ; implicit-def: $vgpr184_vgpr185
                                        ; implicit-def: $vgpr188_vgpr189
                                        ; implicit-def: $vgpr192_vgpr193
	s_and_saveexec_b64 s[14:15], s[2:3]
	s_cbranch_execz .LBB0_13
; %bb.12:
	ds_read_b128 v[128:131], v196 offset:832
	ds_read_b128 v[8:11], v196 offset:2176
	;; [unrolled: 1-line block ×13, first 2 shown]
.LBB0_13:
	s_or_b64 exec, exec, s[14:15]
	v_and_b32_e32 v36, 3, v199
	buffer_store_dword v36, off, s[56:59], 0 offset:8 ; 4-byte Folded Spill
	v_mul_u32_u24_e32 v36, 12, v36
	v_lshlrev_b32_e32 v36, 4, v36
	global_load_dwordx4 v[80:83], v36, s[4:5] offset:32
	global_load_dwordx4 v[84:87], v36, s[4:5] offset:48
	;; [unrolled: 1-line block ×12, first 2 shown]
	s_mov_b32 s36, 0x4267c47c
	buffer_store_dword v199, off, s[56:59], 0 ; 4-byte Folded Spill
	s_mov_b32 s28, 0x42a4c3d2
	s_mov_b32 s30, 0x66966769
	;; [unrolled: 1-line block ×35, first 2 shown]
	s_waitcnt vmcnt(12) lgkmcnt(11)
	v_mul_f64 v[36:37], v[178:179], v[82:83]
	v_mul_f64 v[38:39], v[176:177], v[82:83]
	s_waitcnt vmcnt(11) lgkmcnt(10)
	v_mul_f64 v[40:41], v[174:175], v[86:87]
	v_mul_f64 v[42:43], v[172:173], v[86:87]
	v_mul_f64 v[98:99], v[10:11], v[82:83]
	s_waitcnt vmcnt(7) lgkmcnt(6)
	v_mul_f64 v[56:57], v[158:159], v[126:127]
	;; [unrolled: 4-line block ×3, first 2 shown]
	v_mul_f64 v[252:253], v[8:9], v[82:83]
	s_waitcnt vmcnt(2) lgkmcnt(1)
	v_mul_f64 v[76:77], v[138:139], v[102:103]
	v_mul_f64 v[207:208], v[0:1], v[86:87]
	v_fma_f64 v[176:177], v[176:177], v[80:81], -v[36:37]
	v_fma_f64 v[178:179], v[178:179], v[80:81], v[38:39]
	v_fma_f64 v[40:41], v[172:173], v[84:85], -v[40:41]
	v_fma_f64 v[42:43], v[174:175], v[84:85], v[42:43]
	v_fma_f64 v[156:157], v[156:157], v[124:125], -v[56:57]
	v_fma_f64 v[56:57], v[144:145], v[116:117], -v[68:69]
	;; [unrolled: 1-line block ×4, first 2 shown]
	buffer_store_dword v80, off, s[56:59], 0 offset:668 ; 4-byte Folded Spill
	s_nop 0
	buffer_store_dword v81, off, s[56:59], 0 offset:672 ; 4-byte Folded Spill
	buffer_store_dword v82, off, s[56:59], 0 offset:676 ; 4-byte Folded Spill
	;; [unrolled: 1-line block ×3, first 2 shown]
	v_fma_f64 v[76:77], v[0:1], v[84:85], -v[205:206]
	buffer_store_dword v84, off, s[56:59], 0 offset:684 ; 4-byte Folded Spill
	s_nop 0
	buffer_store_dword v85, off, s[56:59], 0 offset:688 ; 4-byte Folded Spill
	buffer_store_dword v86, off, s[56:59], 0 offset:692 ; 4-byte Folded Spill
	;; [unrolled: 1-line block ×3, first 2 shown]
	v_mul_f64 v[44:45], v[170:171], v[96:97]
	v_mul_f64 v[46:47], v[168:169], v[96:97]
	;; [unrolled: 1-line block ×6, first 2 shown]
	v_fma_f64 v[158:159], v[158:159], v[124:125], v[58:59]
	v_add_f64 v[58:59], v[4:5], v[176:177]
	v_mul_f64 v[60:61], v[154:155], v[122:123]
	v_mul_f64 v[211:212], v[16:17], v[96:97]
	v_fma_f64 v[44:45], v[168:169], v[94:95], -v[44:45]
	v_fma_f64 v[46:47], v[170:171], v[94:95], v[46:47]
	v_fma_f64 v[154:155], v[154:155], v[120:121], v[62:63]
	;; [unrolled: 1-line block ×4, first 2 shown]
	v_mul_f64 v[48:49], v[166:167], v[134:135]
	v_mul_f64 v[50:51], v[164:165], v[134:135]
	;; [unrolled: 1-line block ×3, first 2 shown]
	v_add_f64 v[58:59], v[58:59], v[40:41]
	v_mul_f64 v[52:53], v[162:163], v[110:111]
	v_mul_f64 v[54:55], v[160:161], v[110:111]
	;; [unrolled: 1-line block ×6, first 2 shown]
	s_waitcnt vmcnt(9) lgkmcnt(0)
	v_mul_f64 v[197:198], v[202:203], v[92:93]
	v_mul_f64 v[88:89], v[200:201], v[92:93]
	;; [unrolled: 1-line block ×4, first 2 shown]
	v_fma_f64 v[48:49], v[164:165], v[132:133], -v[48:49]
	v_fma_f64 v[50:51], v[166:167], v[132:133], v[50:51]
	v_fma_f64 v[152:153], v[152:153], v[120:121], -v[60:61]
	v_add_f64 v[60:61], v[6:7], v[178:179]
	v_add_f64 v[0:1], v[58:59], v[44:45]
	v_mul_f64 v[254:255], v[192:193], v[92:93]
	v_fma_f64 v[36:37], v[160:161], v[108:109], -v[52:53]
	v_fma_f64 v[38:39], v[162:163], v[108:109], v[54:55]
	v_fma_f64 v[52:53], v[148:149], v[112:113], -v[64:65]
	v_fma_f64 v[54:55], v[150:151], v[112:113], v[66:67]
	;; [unrolled: 2-line block ×4, first 2 shown]
	v_fma_f64 v[164:165], v[192:193], v[90:91], -v[245:246]
	v_add_f64 v[60:61], v[60:61], v[42:43]
	v_add_f64 v[0:1], v[0:1], v[48:49]
	v_mul_f64 v[219:220], v[24:25], v[110:111]
	v_mul_f64 v[223:224], v[20:21], v[126:127]
	;; [unrolled: 1-line block ×7, first 2 shown]
	v_add_f64 v[0:1], v[0:1], v[36:37]
	v_mul_f64 v[229:230], v[30:31], v[114:115]
	v_fma_f64 v[82:83], v[26:27], v[108:109], v[219:220]
	v_fma_f64 v[201:202], v[32:33], v[120:121], -v[225:226]
	v_fma_f64 v[199:200], v[30:31], v[112:113], v[231:232]
	v_add_f64 v[140:141], v[42:43], -v[70:71]
	v_add_f64 v[142:143], v[40:41], -v[68:69]
	v_fma_f64 v[220:221], v[20:21], v[124:125], -v[221:222]
	v_add_f64 v[0:1], v[0:1], v[156:157]
	v_fma_f64 v[197:198], v[28:29], v[112:113], -v[229:230]
	v_add_f64 v[40:41], v[40:41], v[68:69]
	v_add_f64 v[42:43], v[42:43], v[70:71]
	v_mul_f64 v[237:238], v[186:187], v[106:107]
	v_mul_f64 v[239:240], v[184:185], v[106:107]
	;; [unrolled: 1-line block ×4, first 2 shown]
	v_add_f64 v[0:1], v[0:1], v[152:153]
	v_mul_f64 v[233:234], v[182:183], v[118:119]
	v_mul_f64 v[235:236], v[180:181], v[118:119]
	v_fma_f64 v[172:173], v[184:185], v[104:105], -v[237:238]
	v_fma_f64 v[98:99], v[10:11], v[80:81], v[252:253]
	v_add_f64 v[10:11], v[176:177], -v[72:73]
	v_fma_f64 v[78:79], v[2:3], v[84:85], v[207:208]
	v_fma_f64 v[208:209], v[16:17], v[94:95], -v[209:210]
	buffer_store_dword v94, off, s[56:59], 0 offset:716 ; 4-byte Folded Spill
	s_nop 0
	buffer_store_dword v95, off, s[56:59], 0 offset:720 ; 4-byte Folded Spill
	buffer_store_dword v96, off, s[56:59], 0 offset:724 ; 4-byte Folded Spill
	;; [unrolled: 1-line block ×3, first 2 shown]
	v_fma_f64 v[84:85], v[12:13], v[132:133], -v[213:214]
	buffer_store_dword v132, off, s[56:59], 0 offset:92 ; 4-byte Folded Spill
	s_nop 0
	buffer_store_dword v133, off, s[56:59], 0 offset:96 ; 4-byte Folded Spill
	buffer_store_dword v134, off, s[56:59], 0 offset:100 ; 4-byte Folded Spill
	;; [unrolled: 1-line block ×4, first 2 shown]
	s_nop 0
	buffer_store_dword v91, off, s[56:59], 0 offset:704 ; 4-byte Folded Spill
	buffer_store_dword v92, off, s[56:59], 0 offset:708 ; 4-byte Folded Spill
	;; [unrolled: 1-line block ×3, first 2 shown]
	v_add_f64 v[2:3], v[60:61], v[46:47]
	v_add_f64 v[0:1], v[0:1], v[52:53]
	v_fma_f64 v[252:253], v[22:23], v[124:125], v[223:224]
	v_add_f64 v[12:13], v[176:177], v[72:73]
	v_mul_f64 v[22:23], v[10:11], s[28:29]
	v_mul_f64 v[26:27], v[10:11], s[30:31]
	;; [unrolled: 1-line block ×3, first 2 shown]
	v_fma_f64 v[80:81], v[24:25], v[108:109], -v[217:218]
	v_add_f64 v[2:3], v[2:3], v[50:51]
	v_add_f64 v[0:1], v[0:1], v[56:57]
	v_fma_f64 v[222:223], v[34:35], v[120:121], v[227:228]
	v_mov_b32_e32 v93, v79
	v_mov_b32_e32 v92, v78
	v_fma_f64 v[174:175], v[186:187], v[104:105], v[239:240]
	v_fma_f64 v[166:167], v[188:189], v[100:101], -v[241:242]
	v_fma_f64 v[170:171], v[190:191], v[100:101], v[243:244]
	v_add_f64 v[2:3], v[2:3], v[38:39]
	v_add_f64 v[0:1], v[0:1], v[64:65]
	v_add_f64 v[244:245], v[208:209], -v[172:173]
	v_fma_f64 v[180:181], v[180:181], v[116:117], -v[233:234]
	v_fma_f64 v[182:183], v[182:183], v[116:117], v[235:236]
	v_add_f64 v[242:243], v[92:93], -v[170:171]
	v_add_f64 v[2:3], v[2:3], v[158:159]
	v_add_f64 v[0:1], v[0:1], v[68:69]
	v_mul_f64 v[68:69], v[140:141], s[28:29]
	v_add_f64 v[246:247], v[84:85], -v[180:181]
	v_mul_f64 v[176:177], v[244:245], s[40:41]
	v_mul_f64 v[188:189], v[242:243], s[40:41]
	v_add_f64 v[2:3], v[2:3], v[154:155]
	v_add_f64 v[0:1], v[0:1], v[72:73]
	v_mul_f64 v[72:73], v[10:11], s[38:39]
	v_add_f64 v[2:3], v[2:3], v[54:55]
	v_add_f64 v[2:3], v[2:3], v[62:63]
	;; [unrolled: 1-line block ×4, first 2 shown]
	v_mul_f64 v[70:71], v[142:143], s[28:29]
	v_add_f64 v[2:3], v[2:3], v[74:75]
	v_fma_f64 v[86:87], v[18:19], v[94:95], v[211:212]
	v_mov_b32_e32 v95, v9
	v_mov_b32_e32 v94, v8
	v_add_f64 v[8:9], v[178:179], -v[74:75]
	v_fma_f64 v[88:89], v[14:15], v[132:133], v[215:216]
	v_add_f64 v[14:15], v[178:179], v[74:75]
	v_mul_f64 v[18:19], v[10:11], s[36:37]
	v_mul_f64 v[10:11], v[10:11], s[40:41]
	v_fma_f64 v[168:169], v[194:195], v[90:91], v[254:255]
	v_mov_b32_e32 v91, v77
	v_mov_b32_e32 v90, v76
	v_mul_f64 v[16:17], v[8:9], s[36:37]
	v_mul_f64 v[32:33], v[8:9], s[38:39]
	;; [unrolled: 1-line block ×5, first 2 shown]
	v_fma_f64 v[58:59], v[14:15], s[14:15], v[18:19]
	v_fma_f64 v[18:19], v[14:15], s[14:15], -v[18:19]
	v_fma_f64 v[76:77], v[14:15], s[18:19], v[22:23]
	v_fma_f64 v[34:35], v[12:13], s[14:15], -v[16:17]
	v_fma_f64 v[22:23], v[14:15], s[18:19], -v[22:23]
	v_fma_f64 v[132:133], v[14:15], s[20:21], v[26:27]
	v_fma_f64 v[26:27], v[14:15], s[20:21], -v[26:27]
	v_fma_f64 v[134:135], v[14:15], s[22:23], v[30:31]
	v_fma_f64 v[30:31], v[14:15], s[22:23], -v[30:31]
	v_fma_f64 v[136:137], v[12:13], s[24:25], -v[32:33]
	v_fma_f64 v[138:139], v[14:15], s[24:25], v[72:73]
	v_fma_f64 v[32:33], v[12:13], s[24:25], v[32:33]
	v_fma_f64 v[72:73], v[14:15], s[24:25], -v[72:73]
	v_mul_f64 v[8:9], v[8:9], s[40:41]
	v_fma_f64 v[146:147], v[14:15], s[34:35], v[10:11]
	v_fma_f64 v[10:11], v[14:15], s[34:35], -v[10:11]
	v_fma_f64 v[16:17], v[12:13], s[14:15], v[16:17]
	v_fma_f64 v[60:61], v[12:13], s[18:19], -v[20:21]
	;; [unrolled: 2-line block ×3, first 2 shown]
	v_fma_f64 v[24:25], v[12:13], s[20:21], v[24:25]
	v_add_f64 v[34:35], v[4:5], v[34:35]
	v_add_f64 v[58:59], v[6:7], v[58:59]
	;; [unrolled: 1-line block ×6, first 2 shown]
	v_fma_f64 v[74:75], v[12:13], s[22:23], -v[28:29]
	v_fma_f64 v[28:29], v[12:13], s[22:23], v[28:29]
	v_add_f64 v[26:27], v[6:7], v[26:27]
	v_add_f64 v[134:135], v[6:7], v[134:135]
	;; [unrolled: 1-line block ×4, first 2 shown]
	v_fma_f64 v[144:145], v[12:13], s[34:35], -v[8:9]
	v_fma_f64 v[8:9], v[12:13], s[34:35], v[8:9]
	v_add_f64 v[12:13], v[4:5], v[32:33]
	v_add_f64 v[14:15], v[6:7], v[72:73]
	v_fma_f64 v[32:33], v[40:41], s[18:19], -v[68:69]
	v_fma_f64 v[72:73], v[42:43], s[18:19], v[70:71]
	v_add_f64 v[146:147], v[6:7], v[146:147]
	v_add_f64 v[6:7], v[6:7], v[10:11]
	v_mul_f64 v[10:11], v[142:143], s[26:27]
	v_add_f64 v[16:17], v[4:5], v[16:17]
	v_add_f64 v[60:61], v[4:5], v[60:61]
	;; [unrolled: 1-line block ×10, first 2 shown]
	v_mul_f64 v[8:9], v[140:141], s[26:27]
	v_add_f64 v[32:33], v[32:33], v[34:35]
	v_add_f64 v[34:35], v[72:73], v[58:59]
	v_mul_f64 v[58:59], v[140:141], s[40:41]
	v_mul_f64 v[72:73], v[142:143], s[40:41]
	v_fma_f64 v[68:69], v[40:41], s[18:19], v[68:69]
	v_fma_f64 v[150:151], v[42:43], s[22:23], v[10:11]
	v_fma_f64 v[70:71], v[42:43], s[18:19], -v[70:71]
	v_fma_f64 v[148:149], v[40:41], s[22:23], -v[8:9]
	v_fma_f64 v[8:9], v[40:41], s[22:23], v[8:9]
	v_fma_f64 v[10:11], v[42:43], s[22:23], -v[10:11]
	v_fma_f64 v[160:161], v[40:41], s[34:35], -v[58:59]
	v_fma_f64 v[162:163], v[42:43], s[34:35], v[72:73]
	v_add_f64 v[16:17], v[68:69], v[16:17]
	v_add_f64 v[68:69], v[150:151], v[76:77]
	v_mul_f64 v[76:77], v[142:143], s[44:45]
	v_add_f64 v[18:19], v[70:71], v[18:19]
	v_add_f64 v[8:9], v[8:9], v[20:21]
	;; [unrolled: 1-line block ×5, first 2 shown]
	v_mul_f64 v[70:71], v[140:141], s[44:45]
	v_mul_f64 v[78:79], v[140:141], s[42:43]
	;; [unrolled: 1-line block ×3, first 2 shown]
	v_fma_f64 v[72:73], v[42:43], s[34:35], -v[72:73]
	v_fma_f64 v[150:151], v[42:43], s[24:25], v[76:77]
	v_fma_f64 v[76:77], v[42:43], s[24:25], -v[76:77]
	v_add_f64 v[60:61], v[148:149], v[60:61]
	v_fma_f64 v[58:59], v[40:41], s[34:35], v[58:59]
	v_fma_f64 v[148:149], v[40:41], s[24:25], -v[70:71]
	v_fma_f64 v[70:71], v[40:41], s[24:25], v[70:71]
	v_fma_f64 v[160:161], v[40:41], s[20:21], -v[78:79]
	v_fma_f64 v[162:163], v[42:43], s[20:21], v[132:133]
	v_add_f64 v[26:27], v[72:73], v[26:27]
	v_add_f64 v[72:73], v[150:151], v[134:135]
	;; [unrolled: 1-line block ×3, first 2 shown]
	v_add_f64 v[76:77], v[46:47], -v[66:67]
	v_add_f64 v[134:135], v[44:45], -v[64:65]
	v_add_f64 v[24:25], v[58:59], v[24:25]
	v_add_f64 v[58:59], v[148:149], v[74:75]
	;; [unrolled: 1-line block ×5, first 2 shown]
	v_mul_f64 v[136:137], v[140:141], s[46:47]
	v_mul_f64 v[138:139], v[142:143], s[46:47]
	v_add_f64 v[44:45], v[44:45], v[64:65]
	v_add_f64 v[46:47], v[46:47], v[66:67]
	v_mul_f64 v[64:65], v[76:77], s[30:31]
	v_mul_f64 v[66:67], v[134:135], s[30:31]
	v_fma_f64 v[78:79], v[40:41], s[20:21], v[78:79]
	v_fma_f64 v[132:133], v[42:43], s[20:21], -v[132:133]
	v_fma_f64 v[140:141], v[40:41], s[14:15], -v[136:137]
	v_fma_f64 v[142:143], v[42:43], s[14:15], v[138:139]
	v_fma_f64 v[40:41], v[40:41], s[14:15], v[136:137]
	v_fma_f64 v[42:43], v[42:43], s[14:15], -v[138:139]
	v_fma_f64 v[136:137], v[44:45], s[20:21], -v[64:65]
	v_fma_f64 v[138:139], v[46:47], s[20:21], v[66:67]
	v_fma_f64 v[64:65], v[44:45], s[20:21], v[64:65]
	v_fma_f64 v[66:67], v[46:47], s[20:21], -v[66:67]
	v_add_f64 v[12:13], v[78:79], v[12:13]
	v_add_f64 v[14:15], v[132:133], v[14:15]
	;; [unrolled: 1-line block ×6, first 2 shown]
	v_mul_f64 v[40:41], v[76:77], s[40:41]
	v_mul_f64 v[42:43], v[134:135], s[40:41]
	v_mul_f64 v[136:137], v[76:77], s[48:49]
	v_mul_f64 v[138:139], v[134:135], s[48:49]
	v_add_f64 v[78:79], v[140:141], v[144:145]
	v_add_f64 v[132:133], v[142:143], v[146:147]
	;; [unrolled: 1-line block ×4, first 2 shown]
	v_fma_f64 v[140:141], v[44:45], s[34:35], -v[40:41]
	v_fma_f64 v[142:143], v[46:47], s[34:35], v[42:43]
	v_fma_f64 v[40:41], v[44:45], s[34:35], v[40:41]
	v_fma_f64 v[42:43], v[46:47], s[34:35], -v[42:43]
	v_fma_f64 v[64:65], v[44:45], s[22:23], -v[136:137]
	v_fma_f64 v[66:67], v[46:47], s[22:23], v[138:139]
	v_fma_f64 v[136:137], v[44:45], s[22:23], v[136:137]
	v_fma_f64 v[138:139], v[46:47], s[22:23], -v[138:139]
	v_add_f64 v[60:61], v[140:141], v[60:61]
	v_add_f64 v[68:69], v[142:143], v[68:69]
	;; [unrolled: 1-line block ×4, first 2 shown]
	v_mul_f64 v[40:41], v[76:77], s[46:47]
	v_mul_f64 v[42:43], v[134:135], s[46:47]
	v_add_f64 v[20:21], v[64:65], v[20:21]
	v_add_f64 v[22:23], v[66:67], v[22:23]
	v_mul_f64 v[64:65], v[76:77], s[28:29]
	v_mul_f64 v[66:67], v[134:135], s[28:29]
	;; [unrolled: 1-line block ×4, first 2 shown]
	v_fma_f64 v[140:141], v[44:45], s[14:15], -v[40:41]
	v_fma_f64 v[142:143], v[46:47], s[14:15], v[42:43]
	v_fma_f64 v[40:41], v[44:45], s[14:15], v[40:41]
	v_fma_f64 v[42:43], v[46:47], s[14:15], -v[42:43]
	v_fma_f64 v[144:145], v[44:45], s[18:19], -v[64:65]
	v_fma_f64 v[146:147], v[46:47], s[18:19], v[66:67]
	v_add_f64 v[24:25], v[136:137], v[24:25]
	v_add_f64 v[26:27], v[138:139], v[26:27]
	v_fma_f64 v[64:65], v[44:45], s[18:19], v[64:65]
	v_fma_f64 v[66:67], v[46:47], s[18:19], -v[66:67]
	v_add_f64 v[28:29], v[40:41], v[28:29]
	v_add_f64 v[30:31], v[42:43], v[30:31]
	;; [unrolled: 1-line block ×4, first 2 shown]
	v_add_f64 v[70:71], v[50:51], -v[62:63]
	v_add_f64 v[74:75], v[48:49], -v[56:57]
	v_fma_f64 v[136:137], v[44:45], s[24:25], -v[76:77]
	v_fma_f64 v[138:139], v[46:47], s[24:25], v[134:135]
	v_fma_f64 v[44:45], v[44:45], s[24:25], v[76:77]
	v_fma_f64 v[46:47], v[46:47], s[24:25], -v[134:135]
	v_add_f64 v[48:49], v[48:49], v[56:57]
	v_add_f64 v[50:51], v[50:51], v[62:63]
	v_mul_f64 v[56:57], v[70:71], s[26:27]
	v_mul_f64 v[62:63], v[74:75], s[26:27]
	v_add_f64 v[14:15], v[66:67], v[14:15]
	v_add_f64 v[76:77], v[136:137], v[78:79]
	;; [unrolled: 1-line block ×4, first 2 shown]
	v_mul_f64 v[44:45], v[70:71], s[44:45]
	v_mul_f64 v[46:47], v[74:75], s[44:45]
	v_add_f64 v[78:79], v[138:139], v[132:133]
	v_fma_f64 v[66:67], v[50:51], s[22:23], v[62:63]
	v_add_f64 v[12:13], v[64:65], v[12:13]
	v_fma_f64 v[64:65], v[48:49], s[22:23], -v[56:57]
	v_fma_f64 v[56:57], v[48:49], s[22:23], v[56:57]
	v_fma_f64 v[62:63], v[50:51], s[22:23], -v[62:63]
	v_fma_f64 v[132:133], v[48:49], s[24:25], -v[44:45]
	v_fma_f64 v[134:135], v[50:51], s[24:25], v[46:47]
	v_fma_f64 v[44:45], v[48:49], s[24:25], v[44:45]
	v_fma_f64 v[46:47], v[50:51], s[24:25], -v[46:47]
	v_add_f64 v[34:35], v[66:67], v[34:35]
	v_mul_f64 v[66:67], v[74:75], s[46:47]
	v_add_f64 v[32:33], v[64:65], v[32:33]
	v_mul_f64 v[64:65], v[70:71], s[46:47]
	v_add_f64 v[16:17], v[56:57], v[16:17]
	v_add_f64 v[56:57], v[132:133], v[60:61]
	;; [unrolled: 1-line block ×4, first 2 shown]
	v_mul_f64 v[44:45], v[70:71], s[30:31]
	v_mul_f64 v[46:47], v[74:75], s[30:31]
	v_fma_f64 v[138:139], v[50:51], s[14:15], v[66:67]
	v_add_f64 v[60:61], v[134:135], v[68:69]
	v_fma_f64 v[66:67], v[50:51], s[14:15], -v[66:67]
	v_add_f64 v[72:73], v[142:143], v[72:73]
	v_fma_f64 v[136:137], v[48:49], s[14:15], -v[64:65]
	;; [unrolled: 2-line block ×3, first 2 shown]
	v_fma_f64 v[134:135], v[50:51], s[20:21], v[46:47]
	v_fma_f64 v[44:45], v[48:49], s[20:21], v[44:45]
	v_fma_f64 v[46:47], v[50:51], s[20:21], -v[46:47]
	v_mul_f64 v[62:63], v[70:71], s[52:53]
	v_mul_f64 v[68:69], v[74:75], s[52:53]
	v_fma_f64 v[64:65], v[48:49], s[14:15], v[64:65]
	v_add_f64 v[26:27], v[66:67], v[26:27]
	v_mul_f64 v[66:67], v[70:71], s[50:51]
	v_mul_f64 v[70:71], v[74:75], s[50:51]
	v_add_f64 v[28:29], v[44:45], v[28:29]
	v_add_f64 v[30:31], v[46:47], v[30:31]
	v_add_f64 v[44:45], v[38:39], -v[54:55]
	v_add_f64 v[46:47], v[36:37], -v[52:53]
	v_add_f64 v[20:21], v[136:137], v[20:21]
	v_add_f64 v[22:23], v[138:139], v[22:23]
	v_fma_f64 v[136:137], v[48:49], s[34:35], -v[62:63]
	v_fma_f64 v[138:139], v[50:51], s[34:35], v[68:69]
	v_add_f64 v[24:25], v[64:65], v[24:25]
	v_add_f64 v[64:65], v[134:135], v[72:73]
	v_fma_f64 v[62:63], v[48:49], s[34:35], v[62:63]
	v_fma_f64 v[68:69], v[50:51], s[34:35], -v[68:69]
	v_add_f64 v[36:37], v[36:37], v[52:53]
	v_add_f64 v[38:39], v[38:39], v[54:55]
	v_mul_f64 v[52:53], v[44:45], s[38:39]
	v_mul_f64 v[54:55], v[46:47], s[38:39]
	v_fma_f64 v[72:73], v[48:49], s[18:19], -v[66:67]
	v_fma_f64 v[74:75], v[50:51], s[18:19], v[70:71]
	v_fma_f64 v[48:49], v[48:49], s[18:19], v[66:67]
	v_fma_f64 v[50:51], v[50:51], s[18:19], -v[70:71]
	v_add_f64 v[12:13], v[62:63], v[12:13]
	v_add_f64 v[14:15], v[68:69], v[14:15]
	v_fma_f64 v[62:63], v[36:37], s[24:25], -v[52:53]
	v_fma_f64 v[66:67], v[38:39], s[24:25], v[54:55]
	v_add_f64 v[68:69], v[72:73], v[76:77]
	v_add_f64 v[70:71], v[74:75], v[78:79]
	;; [unrolled: 1-line block ×4, first 2 shown]
	v_mul_f64 v[48:49], v[44:45], s[42:43]
	v_mul_f64 v[50:51], v[46:47], s[42:43]
	v_add_f64 v[32:33], v[62:63], v[32:33]
	v_add_f64 v[34:35], v[66:67], v[34:35]
	v_fma_f64 v[52:53], v[36:37], s[24:25], v[52:53]
	v_fma_f64 v[54:55], v[38:39], s[24:25], -v[54:55]
	v_mul_f64 v[62:63], v[44:45], s[28:29]
	v_mul_f64 v[66:67], v[46:47], s[28:29]
	v_fma_f64 v[72:73], v[36:37], s[20:21], -v[48:49]
	v_fma_f64 v[74:75], v[38:39], s[20:21], v[50:51]
	v_fma_f64 v[48:49], v[36:37], s[20:21], v[48:49]
	v_fma_f64 v[50:51], v[38:39], s[20:21], -v[50:51]
	v_add_f64 v[204:205], v[94:95], v[164:165]
	buffer_store_dword v164, off, s[56:59], 0 offset:460 ; 4-byte Folded Spill
	s_nop 0
	buffer_store_dword v165, off, s[56:59], 0 offset:464 ; 4-byte Folded Spill
	v_add_f64 v[16:17], v[52:53], v[16:17]
	v_add_f64 v[18:19], v[54:55], v[18:19]
	v_fma_f64 v[52:53], v[36:37], s[18:19], -v[62:63]
	v_fma_f64 v[54:55], v[38:39], s[18:19], v[66:67]
	v_add_f64 v[8:9], v[48:49], v[8:9]
	v_add_f64 v[10:11], v[50:51], v[10:11]
	v_mul_f64 v[48:49], v[44:45], s[52:53]
	v_mul_f64 v[50:51], v[46:47], s[52:53]
	v_add_f64 v[58:59], v[140:141], v[58:59]
	v_add_f64 v[56:57], v[72:73], v[56:57]
	;; [unrolled: 1-line block ×5, first 2 shown]
	v_fma_f64 v[52:53], v[36:37], s[18:19], v[62:63]
	v_fma_f64 v[54:55], v[38:39], s[18:19], -v[66:67]
	v_mul_f64 v[62:63], v[44:45], s[46:47]
	v_mul_f64 v[66:67], v[46:47], s[46:47]
	v_fma_f64 v[72:73], v[36:37], s[34:35], -v[48:49]
	v_fma_f64 v[74:75], v[38:39], s[34:35], v[50:51]
	v_fma_f64 v[48:49], v[36:37], s[34:35], v[48:49]
	v_fma_f64 v[50:51], v[38:39], s[34:35], -v[50:51]
	v_add_f64 v[58:59], v[132:133], v[58:59]
	v_add_f64 v[40:41], v[136:137], v[40:41]
	;; [unrolled: 1-line block ×5, first 2 shown]
	v_fma_f64 v[52:53], v[36:37], s[14:15], -v[62:63]
	v_fma_f64 v[54:55], v[38:39], s[14:15], v[66:67]
	v_add_f64 v[48:49], v[48:49], v[28:29]
	v_add_f64 v[50:51], v[50:51], v[30:31]
	v_mul_f64 v[28:29], v[44:45], s[26:27]
	v_mul_f64 v[30:31], v[46:47], s[26:27]
	v_add_f64 v[44:45], v[158:159], -v[154:155]
	v_add_f64 v[46:47], v[156:157], -v[152:153]
	v_add_f64 v[58:59], v[72:73], v[58:59]
	v_add_f64 v[64:65], v[74:75], v[64:65]
	;; [unrolled: 1-line block ×4, first 2 shown]
	v_fma_f64 v[52:53], v[36:37], s[14:15], v[62:63]
	v_fma_f64 v[54:55], v[38:39], s[14:15], -v[66:67]
	v_fma_f64 v[62:63], v[36:37], s[22:23], -v[28:29]
	v_add_f64 v[72:73], v[156:157], v[152:153]
	v_add_f64 v[74:75], v[158:159], v[154:155]
	v_mul_f64 v[76:77], v[44:45], s[40:41]
	v_mul_f64 v[78:79], v[46:47], s[40:41]
	v_fma_f64 v[28:29], v[36:37], s[22:23], v[28:29]
	v_fma_f64 v[66:67], v[38:39], s[22:23], v[30:31]
	v_add_f64 v[36:37], v[52:53], v[12:13]
	v_add_f64 v[52:53], v[54:55], v[14:15]
	;; [unrolled: 1-line block ×3, first 2 shown]
	v_fma_f64 v[12:13], v[38:39], s[22:23], -v[30:31]
	v_fma_f64 v[14:15], v[72:73], s[34:35], -v[76:77]
	v_fma_f64 v[30:31], v[74:75], s[34:35], v[78:79]
	v_add_f64 v[62:63], v[28:29], v[4:5]
	v_mul_f64 v[28:29], v[44:45], s[46:47]
	v_fma_f64 v[4:5], v[72:73], s[34:35], v[76:77]
	v_add_f64 v[38:39], v[66:67], v[70:71]
	v_mul_f64 v[66:67], v[46:47], s[46:47]
	v_add_f64 v[68:69], v[12:13], v[6:7]
	v_add_f64 v[12:13], v[14:15], v[32:33]
	;; [unrolled: 1-line block ×3, first 2 shown]
	v_mul_f64 v[30:31], v[44:45], s[38:39]
	v_fma_f64 v[32:33], v[72:73], s[14:15], -v[28:29]
	v_add_f64 v[4:5], v[4:5], v[16:17]
	v_fma_f64 v[28:29], v[72:73], s[14:15], v[28:29]
	v_fma_f64 v[6:7], v[74:75], s[34:35], -v[78:79]
	v_mul_f64 v[78:79], v[46:47], s[26:27]
	v_mul_f64 v[70:71], v[46:47], s[38:39]
	v_add_f64 v[238:239], v[98:99], -v[168:169]
	v_fma_f64 v[76:77], v[72:73], s[24:25], -v[30:31]
	v_add_f64 v[16:17], v[32:33], v[56:57]
	v_mul_f64 v[32:33], v[44:45], s[50:51]
	v_add_f64 v[8:9], v[28:29], v[8:9]
	v_mul_f64 v[56:57], v[46:47], s[50:51]
	v_mul_f64 v[46:47], v[46:47], s[42:43]
	buffer_store_dword v168, off, s[56:59], 0 offset:492 ; 4-byte Folded Spill
	s_nop 0
	buffer_store_dword v169, off, s[56:59], 0 offset:496 ; 4-byte Folded Spill
	buffer_store_dword v98, off, s[56:59], 0 offset:828 ; 4-byte Folded Spill
	s_nop 0
	buffer_store_dword v99, off, s[56:59], 0 offset:832 ; 4-byte Folded Spill
	v_fma_f64 v[34:35], v[74:75], s[14:15], v[66:67]
	v_add_f64 v[28:29], v[76:77], v[20:21]
	v_fma_f64 v[20:21], v[72:73], s[24:25], v[30:31]
	v_fma_f64 v[76:77], v[72:73], s[18:19], v[32:33]
	v_add_f64 v[230:231], v[94:95], -v[164:165]
	v_add_f64 v[6:7], v[6:7], v[18:19]
	v_fma_f64 v[66:67], v[74:75], s[14:15], -v[66:67]
	v_add_f64 v[240:241], v[90:91], -v[166:167]
	v_add_f64 v[18:19], v[34:35], v[60:61]
	v_fma_f64 v[34:35], v[74:75], s[24:25], v[70:71]
	v_add_f64 v[20:21], v[20:21], v[24:25]
	v_add_f64 v[24:25], v[76:77], v[48:49]
	v_fma_f64 v[48:49], v[74:75], s[22:23], v[78:79]
	v_fma_f64 v[60:61], v[74:75], s[24:25], -v[70:71]
	v_mul_f64 v[70:71], v[44:45], s[26:27]
	v_add_f64 v[10:11], v[66:67], v[10:11]
	v_fma_f64 v[66:67], v[72:73], s[18:19], -v[32:33]
	v_add_f64 v[30:31], v[34:35], v[22:23]
	v_fma_f64 v[34:35], v[74:75], s[18:19], v[56:57]
	v_mul_f64 v[44:45], v[44:45], s[42:43]
	v_add_f64 v[148:149], v[48:49], v[42:43]
	v_fma_f64 v[42:43], v[74:75], s[20:21], v[46:47]
	v_add_f64 v[22:23], v[60:61], v[26:27]
	v_fma_f64 v[26:27], v[74:75], s[18:19], -v[56:57]
	v_fma_f64 v[56:57], v[72:73], s[22:23], -v[70:71]
	v_add_f64 v[32:33], v[66:67], v[58:59]
	v_fma_f64 v[58:59], v[72:73], s[22:23], v[70:71]
	v_mul_f64 v[48:49], v[240:241], s[28:29]
	v_mul_f64 v[96:97], v[238:239], s[36:37]
	v_add_f64 v[156:157], v[42:43], v[38:39]
	v_mul_f64 v[38:39], v[230:231], s[36:37]
	buffer_store_dword v38, off, s[56:59], 0 offset:836 ; 4-byte Folded Spill
	s_nop 0
	buffer_store_dword v39, off, s[56:59], 0 offset:840 ; 4-byte Folded Spill
	v_add_f64 v[146:147], v[56:57], v[40:41]
	v_fma_f64 v[40:41], v[74:75], s[22:23], -v[78:79]
	v_add_f64 v[26:27], v[26:27], v[50:51]
	v_add_f64 v[150:151], v[58:59], v[36:37]
	v_fma_f64 v[36:37], v[72:73], s[20:21], -v[44:45]
	v_mul_f64 v[42:43], v[230:231], s[28:29]
	v_mul_f64 v[50:51], v[242:243], s[26:27]
	buffer_store_dword v166, off, s[56:59], 0 offset:476 ; 4-byte Folded Spill
	s_nop 0
	buffer_store_dword v167, off, s[56:59], 0 offset:480 ; 4-byte Folded Spill
	buffer_store_dword v170, off, s[56:59], 0 offset:508 ; 4-byte Folded Spill
	s_nop 0
	buffer_store_dword v171, off, s[56:59], 0 offset:512 ; 4-byte Folded Spill
	v_add_f64 v[152:153], v[40:41], v[52:53]
	v_fma_f64 v[40:41], v[72:73], s[20:21], v[44:45]
	v_fma_f64 v[44:45], v[74:75], s[20:21], -v[46:47]
	v_mul_f64 v[46:47], v[242:243], s[28:29]
	buffer_store_dword v42, off, s[56:59], 0 offset:884 ; 4-byte Folded Spill
	s_nop 0
	buffer_store_dword v43, off, s[56:59], 0 offset:888 ; 4-byte Folded Spill
	buffer_store_dword v46, off, s[56:59], 0 offset:844 ; 4-byte Folded Spill
	s_nop 0
	buffer_store_dword v47, off, s[56:59], 0 offset:848 ; 4-byte Folded Spill
	v_add_f64 v[160:161], v[44:45], v[68:69]
	buffer_store_dword v48, off, s[56:59], 0 offset:852 ; 4-byte Folded Spill
	s_nop 0
	buffer_store_dword v49, off, s[56:59], 0 offset:856 ; 4-byte Folded Spill
	buffer_store_dword v50, off, s[56:59], 0 offset:860 ; 4-byte Folded Spill
	s_nop 0
	buffer_store_dword v51, off, s[56:59], 0 offset:864 ; 4-byte Folded Spill
	;; [unrolled: 3-line block ×4, first 2 shown]
	v_add_f64 v[154:155], v[36:37], v[54:55]
	v_mul_f64 v[54:55], v[240:241], s[26:27]
	v_add_f64 v[58:59], v[88:89], -v[182:183]
	v_fma_f64 v[36:37], v[204:205], s[14:15], v[96:97]
	v_add_f64 v[158:159], v[40:41], v[62:63]
	v_add_f64 v[34:35], v[34:35], v[64:65]
	v_add_f64 v[64:65], v[82:83], -v[199:200]
	v_add_f64 v[78:79], v[252:253], -v[222:223]
	;; [unrolled: 1-line block ×3, first 2 shown]
	v_mul_f64 v[192:193], v[238:239], s[30:31]
	v_mul_f64 v[236:237], v[230:231], s[30:31]
	v_add_f64 v[36:37], v[128:129], v[36:37]
	v_mul_f64 v[186:187], v[58:59], s[46:47]
	v_mul_f64 v[76:77], v[238:239], s[38:39]
	v_add_f64 v[214:215], v[98:99], v[168:169]
	v_mul_f64 v[98:99], v[238:239], s[28:29]
	v_mul_f64 v[168:169], v[68:69], s[40:41]
	;; [unrolled: 1-line block ×8, first 2 shown]
	v_fma_f64 v[40:41], v[204:205], s[18:19], v[98:99]
	v_mul_f64 v[142:143], v[230:231], s[38:39]
	v_mul_f64 v[140:141], v[240:241], s[42:43]
	v_mul_f64 v[138:139], v[244:245], s[28:29]
	v_mul_f64 v[136:137], v[246:247], s[52:53]
	v_add_f64 v[40:41], v[128:129], v[40:41]
	v_fma_f64 v[38:39], v[214:215], s[14:15], -v[38:39]
	v_add_f64 v[44:45], v[130:131], v[38:39]
	v_add_f64 v[38:39], v[86:87], -v[174:175]
	buffer_store_dword v174, off, s[56:59], 0 offset:540 ; 4-byte Folded Spill
	s_nop 0
	buffer_store_dword v175, off, s[56:59], 0 offset:544 ; 4-byte Folded Spill
	buffer_store_dword v86, off, s[56:59], 0 offset:820 ; 4-byte Folded Spill
	s_nop 0
	buffer_store_dword v87, off, s[56:59], 0 offset:824 ; 4-byte Folded Spill
	v_add_f64 v[210:211], v[90:91], v[166:167]
	v_add_f64 v[206:207], v[92:93], v[170:171]
	v_mul_f64 v[170:171], v[78:79], s[46:47]
	v_fma_f64 v[42:43], v[214:215], s[18:19], -v[42:43]
	v_mul_f64 v[52:53], v[38:39], s[30:31]
	v_mul_f64 v[60:61], v[38:39], s[40:41]
	;; [unrolled: 1-line block ×3, first 2 shown]
	v_fma_f64 v[46:47], v[210:211], s[18:19], v[46:47]
	v_add_f64 v[42:43], v[130:131], v[42:43]
	v_fma_f64 v[48:49], v[206:207], s[18:19], -v[48:49]
	v_fma_f64 v[50:51], v[210:211], s[22:23], v[50:51]
	v_add_f64 v[208:209], v[208:209], v[172:173]
	v_mul_f64 v[172:173], v[58:59], s[44:45]
	v_add_f64 v[36:37], v[46:47], v[36:37]
	v_add_f64 v[44:45], v[48:49], v[44:45]
	;; [unrolled: 1-line block ×4, first 2 shown]
	v_mov_b32_e32 v87, v53
	v_mov_b32_e32 v86, v52
	v_mul_f64 v[52:53], v[244:245], s[30:31]
	buffer_store_dword v52, off, s[56:59], 0 offset:868 ; 4-byte Folded Spill
	s_nop 0
	buffer_store_dword v53, off, s[56:59], 0 offset:872 ; 4-byte Folded Spill
	buffer_store_dword v180, off, s[56:59], 0 offset:564 ; 4-byte Folded Spill
	s_nop 0
	buffer_store_dword v181, off, s[56:59], 0 offset:568 ; 4-byte Folded Spill
	;; [unrolled: 3-line block ×5, first 2 shown]
	v_fma_f64 v[46:47], v[208:209], s[20:21], v[86:87]
	v_mul_f64 v[174:175], v[64:65], s[42:43]
	v_add_f64 v[36:37], v[46:47], v[36:37]
	v_add_f64 v[46:47], v[80:81], -v[197:198]
	v_mul_f64 v[56:57], v[46:47], s[38:39]
	v_mul_f64 v[178:179], v[46:47], s[42:43]
	v_fma_f64 v[48:49], v[212:213], s[20:21], -v[52:53]
	v_mul_f64 v[52:53], v[246:247], s[26:27]
	buffer_store_dword v52, off, s[56:59], 0 offset:876 ; 4-byte Folded Spill
	s_nop 0
	buffer_store_dword v53, off, s[56:59], 0 offset:880 ; 4-byte Folded Spill
	v_fma_f64 v[50:51], v[206:207], s[22:23], -v[54:55]
	buffer_store_dword v197, off, s[56:59], 0 offset:748 ; 4-byte Folded Spill
	s_nop 0
	buffer_store_dword v198, off, s[56:59], 0 offset:752 ; 4-byte Folded Spill
	buffer_store_dword v80, off, s[56:59], 0 offset:796 ; 4-byte Folded Spill
	s_nop 0
	buffer_store_dword v81, off, s[56:59], 0 offset:800 ; 4-byte Folded Spill
	v_mul_f64 v[54:55], v[64:65], s[38:39]
	buffer_store_dword v199, off, s[56:59], 0 offset:756 ; 4-byte Folded Spill
	s_nop 0
	buffer_store_dword v200, off, s[56:59], 0 offset:760 ; 4-byte Folded Spill
	buffer_store_dword v60, off, s[56:59], 0 offset:916 ; 4-byte Folded Spill
	s_nop 0
	buffer_store_dword v61, off, s[56:59], 0 offset:920 ; 4-byte Folded Spill
	;; [unrolled: 3-line block ×8, first 2 shown]
	v_add_f64 v[216:217], v[84:85], v[180:181]
	v_mov_b32_e32 v84, v88
	v_mov_b32_e32 v85, v89
	v_mul_f64 v[88:89], v[58:59], s[26:27]
	v_add_f64 v[44:45], v[48:49], v[44:45]
	v_add_f64 v[42:43], v[50:51], v[42:43]
	;; [unrolled: 1-line block ×3, first 2 shown]
	v_mul_f64 v[182:183], v[246:247], s[44:45]
	v_mul_f64 v[180:181], v[68:69], s[46:47]
	v_fma_f64 v[48:49], v[216:217], s[22:23], v[88:89]
	v_add_f64 v[36:37], v[48:49], v[36:37]
	v_fma_f64 v[52:53], v[218:219], s[22:23], -v[52:53]
	v_add_f64 v[226:227], v[80:81], v[197:198]
	v_add_f64 v[228:229], v[82:83], v[199:200]
	v_fma_f64 v[50:51], v[208:209], s[34:35], v[60:61]
	v_mul_f64 v[198:199], v[46:47], s[28:29]
	v_mul_f64 v[60:61], v[230:231], s[26:27]
	v_add_f64 v[44:45], v[52:53], v[44:45]
	v_fma_f64 v[48:49], v[226:227], s[24:25], v[54:55]
	v_fma_f64 v[52:53], v[228:229], s[24:25], -v[56:57]
	v_add_f64 v[220:221], v[220:221], v[201:202]
	v_add_f64 v[224:225], v[252:253], v[222:223]
	v_mul_f64 v[252:253], v[78:79], s[40:41]
	v_add_f64 v[40:41], v[50:51], v[40:41]
	v_mul_f64 v[222:223], v[240:241], s[40:41]
	v_mul_f64 v[202:203], v[244:245], s[48:49]
	v_add_f64 v[36:37], v[48:49], v[36:37]
	v_add_f64 v[44:45], v[52:53], v[44:45]
	v_mul_f64 v[200:201], v[246:247], s[46:47]
	v_fma_f64 v[50:51], v[224:225], s[34:35], -v[168:169]
	v_fma_f64 v[48:49], v[220:221], s[34:35], v[252:253]
	v_mul_f64 v[56:57], v[240:241], s[44:45]
	v_mul_f64 v[54:55], v[244:245], s[46:47]
	v_add_f64 v[50:51], v[50:51], v[44:45]
	v_add_f64 v[48:49], v[48:49], v[36:37]
	v_fma_f64 v[36:37], v[212:213], s[34:35], -v[176:177]
	buffer_store_dword v48, off, s[56:59], 0 offset:28 ; 4-byte Folded Spill
	s_nop 0
	buffer_store_dword v49, off, s[56:59], 0 offset:32 ; 4-byte Folded Spill
	buffer_store_dword v50, off, s[56:59], 0 offset:36 ; 4-byte Folded Spill
	;; [unrolled: 1-line block ×3, first 2 shown]
	v_add_f64 v[36:37], v[36:37], v[42:43]
	v_fma_f64 v[42:43], v[216:217], s[24:25], v[172:173]
	v_fma_f64 v[48:49], v[206:207], s[24:25], -v[56:57]
	v_add_f64 v[40:41], v[42:43], v[40:41]
	v_fma_f64 v[42:43], v[218:219], s[24:25], -v[182:183]
	v_add_f64 v[36:37], v[42:43], v[36:37]
	v_fma_f64 v[42:43], v[226:227], s[20:21], v[174:175]
	v_add_f64 v[40:41], v[42:43], v[40:41]
	v_fma_f64 v[42:43], v[228:229], s[20:21], -v[178:179]
	v_add_f64 v[36:37], v[42:43], v[36:37]
	v_fma_f64 v[42:43], v[220:221], s[14:15], v[170:171]
	;; [unrolled: 4-line block ×3, first 2 shown]
	v_fma_f64 v[40:41], v[210:211], s[34:35], v[188:189]
	buffer_store_dword v42, off, s[56:59], 0 offset:44 ; 4-byte Folded Spill
	s_nop 0
	buffer_store_dword v43, off, s[56:59], 0 offset:48 ; 4-byte Folded Spill
	buffer_store_dword v44, off, s[56:59], 0 offset:52 ; 4-byte Folded Spill
	;; [unrolled: 1-line block ×3, first 2 shown]
	v_add_f64 v[36:37], v[128:129], v[36:37]
	v_fma_f64 v[42:43], v[206:207], s[34:35], -v[222:223]
	v_add_f64 v[36:37], v[40:41], v[36:37]
	v_fma_f64 v[40:41], v[214:215], s[20:21], -v[236:237]
	v_add_f64 v[40:41], v[130:131], v[40:41]
	v_add_f64 v[40:41], v[42:43], v[40:41]
	v_fma_f64 v[42:43], v[208:209], s[22:23], v[190:191]
	v_add_f64 v[36:37], v[42:43], v[36:37]
	v_fma_f64 v[42:43], v[212:213], s[22:23], -v[202:203]
	v_add_f64 v[40:41], v[42:43], v[40:41]
	v_fma_f64 v[42:43], v[216:217], s[14:15], v[186:187]
	v_add_f64 v[36:37], v[42:43], v[36:37]
	v_fma_f64 v[42:43], v[218:219], s[14:15], -v[200:201]
	;; [unrolled: 4-line block ×4, first 2 shown]
	v_add_f64 v[44:45], v[36:37], v[40:41]
	buffer_store_dword v42, off, s[56:59], 0 offset:60 ; 4-byte Folded Spill
	s_nop 0
	buffer_store_dword v43, off, s[56:59], 0 offset:64 ; 4-byte Folded Spill
	buffer_store_dword v44, off, s[56:59], 0 offset:68 ; 4-byte Folded Spill
	;; [unrolled: 1-line block ×3, first 2 shown]
	v_mul_f64 v[44:45], v[238:239], s[26:27]
	v_mul_f64 v[40:41], v[242:243], s[44:45]
	v_fma_f64 v[36:37], v[204:205], s[22:23], v[44:45]
	v_fma_f64 v[42:43], v[210:211], s[24:25], v[40:41]
	v_add_f64 v[36:37], v[128:129], v[36:37]
	v_add_f64 v[36:37], v[42:43], v[36:37]
	v_fma_f64 v[42:43], v[214:215], s[22:23], -v[60:61]
	v_add_f64 v[42:43], v[130:131], v[42:43]
	v_add_f64 v[48:49], v[48:49], v[42:43]
	v_mul_f64 v[42:43], v[38:39], s[46:47]
	v_fma_f64 v[50:51], v[208:209], s[14:15], v[42:43]
	v_add_f64 v[50:51], v[50:51], v[36:37]
	v_fma_f64 v[36:37], v[212:213], s[14:15], -v[54:55]
	v_add_f64 v[48:49], v[36:37], v[48:49]
	v_mul_f64 v[36:37], v[58:59], s[30:31]
	v_fma_f64 v[52:53], v[216:217], s[20:21], v[36:37]
	v_add_f64 v[50:51], v[52:53], v[50:51]
	v_mul_f64 v[52:53], v[246:247], s[30:31]
	v_fma_f64 v[62:63], v[218:219], s[20:21], -v[52:53]
	v_add_f64 v[48:49], v[62:63], v[48:49]
	v_fma_f64 v[62:63], v[226:227], s[34:35], v[232:233]
	v_add_f64 v[62:63], v[62:63], v[50:51]
	v_mul_f64 v[50:51], v[46:47], s[52:53]
	v_fma_f64 v[66:67], v[228:229], s[34:35], -v[50:51]
	v_add_f64 v[66:67], v[66:67], v[48:49]
	;; [unrolled: 5-line block ×3, first 2 shown]
	v_fma_f64 v[62:63], v[204:205], s[24:25], v[76:77]
	v_fma_f64 v[66:67], v[210:211], s[20:21], v[74:75]
	buffer_store_dword v70, off, s[56:59], 0 offset:76 ; 4-byte Folded Spill
	s_nop 0
	buffer_store_dword v71, off, s[56:59], 0 offset:80 ; 4-byte Folded Spill
	buffer_store_dword v72, off, s[56:59], 0 offset:84 ; 4-byte Folded Spill
	;; [unrolled: 1-line block ×3, first 2 shown]
	v_add_f64 v[62:63], v[128:129], v[62:63]
	v_fma_f64 v[70:71], v[206:207], s[20:21], -v[140:141]
	v_mul_f64 v[72:73], v[38:39], s[28:29]
	s_waitcnt lgkmcnt(0)
	; wave barrier
	s_waitcnt vmcnt(63) expcnt(7) lgkmcnt(15)
	buffer_load_dword v80, off, s[56:59], 0 ; 4-byte Folded Reload
	v_add_f64 v[62:63], v[66:67], v[62:63]
	v_fma_f64 v[66:67], v[214:215], s[24:25], -v[142:143]
	v_add_f64 v[66:67], v[130:131], v[66:67]
	v_add_f64 v[66:67], v[70:71], v[66:67]
	v_fma_f64 v[70:71], v[208:209], s[18:19], v[72:73]
	v_add_f64 v[62:63], v[70:71], v[62:63]
	v_fma_f64 v[70:71], v[212:213], s[18:19], -v[138:139]
	v_add_f64 v[70:71], v[70:71], v[66:67]
	v_mul_f64 v[66:67], v[58:59], s[52:53]
	v_fma_f64 v[132:133], v[216:217], s[34:35], v[66:67]
	v_add_f64 v[132:133], v[132:133], v[62:63]
	v_fma_f64 v[62:63], v[218:219], s[34:35], -v[136:137]
	v_add_f64 v[70:71], v[62:63], v[70:71]
	v_mul_f64 v[62:63], v[64:65], s[46:47]
	v_fma_f64 v[134:135], v[226:227], s[14:15], v[62:63]
	v_add_f64 v[132:133], v[134:135], v[132:133]
	v_mul_f64 v[134:135], v[46:47], s[46:47]
	v_fma_f64 v[254:255], v[228:229], s[14:15], -v[134:135]
	v_add_f64 v[254:255], v[254:255], v[70:71]
	v_mul_f64 v[70:71], v[78:79], s[26:27]
	v_fma_f64 v[162:163], v[220:221], s[22:23], v[70:71]
	v_add_f64 v[164:165], v[162:163], v[132:133]
	v_mul_f64 v[132:133], v[68:69], s[26:27]
	v_fma_f64 v[162:163], v[224:225], s[22:23], -v[132:133]
	v_add_f64 v[166:167], v[162:163], v[254:255]
	s_waitcnt vmcnt(0)
	v_lshrrev_b32_e32 v162, 2, v80
	buffer_load_dword v80, off, s[56:59], 0 offset:8 ; 4-byte Folded Reload
	v_mul_u32_u24_e32 v162, 52, v162
	s_waitcnt vmcnt(0)
	v_or_b32_e32 v162, v162, v80
	v_lshlrev_b32_e32 v197, 4, v162
	ds_write_b128 v197, v[0:3]
	ds_write_b128 v197, v[12:15] offset:64
	ds_write_b128 v197, v[16:19] offset:128
	;; [unrolled: 1-line block ×12, first 2 shown]
	buffer_load_dword v0, off, s[56:59], 0 offset:440 ; 4-byte Folded Reload
	s_waitcnt vmcnt(0)
	v_lshrrev_b32_e32 v0, 2, v0
	buffer_store_dword v0, off, s[56:59], 0 offset:440 ; 4-byte Folded Spill
	s_and_saveexec_b64 s[54:55], s[2:3]
	s_cbranch_execz .LBB0_15
; %bb.14:
	v_mul_f64 v[4:5], v[214:215], s[34:35]
	v_mul_f64 v[6:7], v[206:207], s[14:15]
	;; [unrolled: 1-line block ×8, first 2 shown]
	v_fma_f64 v[0:1], v[230:231], s[52:53], v[4:5]
	v_fma_f64 v[2:3], v[240:241], s[36:37], v[6:7]
	;; [unrolled: 1-line block ×5, first 2 shown]
	v_fma_f64 v[8:9], v[204:205], s[34:35], -v[8:9]
	v_add_f64 v[32:33], v[140:141], v[32:33]
	v_add_f64 v[78:79], v[132:133], v[78:79]
	;; [unrolled: 1-line block ×3, first 2 shown]
	v_mul_f64 v[132:133], v[220:221], s[22:23]
	v_add_f64 v[12:13], v[128:129], v[12:13]
	v_add_f64 v[4:5], v[130:131], v[4:5]
	v_mul_f64 v[140:141], v[208:209], s[14:15]
	v_add_f64 v[8:9], v[128:129], v[8:9]
	v_mul_f64 v[146:147], v[216:217], s[20:21]
	v_mul_f64 v[152:153], v[226:227], s[34:35]
	v_add_f64 v[0:1], v[2:3], v[0:1]
	v_fma_f64 v[2:3], v[210:211], s[14:15], v[10:11]
	v_fma_f64 v[10:11], v[210:211], s[14:15], -v[10:11]
	v_add_f64 v[4:5], v[6:7], v[4:5]
	v_mul_f64 v[6:7], v[214:215], s[24:25]
	v_add_f64 v[70:71], v[132:133], -v[70:71]
	v_mul_f64 v[132:133], v[226:227], s[14:15]
	v_add_f64 v[42:43], v[140:141], -v[42:43]
	v_add_f64 v[36:37], v[146:147], -v[36:37]
	v_add_f64 v[2:3], v[2:3], v[12:13]
	v_mul_f64 v[12:13], v[212:213], s[24:25]
	v_add_f64 v[8:9], v[10:11], v[8:9]
	v_add_f64 v[6:7], v[142:143], v[6:7]
	v_mul_f64 v[34:35], v[214:215], s[18:19]
	v_add_f64 v[62:63], v[132:133], -v[62:63]
	v_mul_f64 v[132:133], v[218:219], s[20:21]
	v_mul_f64 v[142:143], v[218:219], s[14:15]
	;; [unrolled: 1-line block ×3, first 2 shown]
	v_fma_f64 v[14:15], v[244:245], s[44:45], v[12:13]
	v_fma_f64 v[12:13], v[244:245], s[38:39], v[12:13]
	v_add_f64 v[6:7], v[130:131], v[6:7]
	v_mul_f64 v[30:31], v[214:215], s[14:15]
	v_mul_f64 v[140:141], v[226:227], s[18:19]
	v_add_f64 v[52:53], v[52:53], v[132:133]
	v_mul_f64 v[132:133], v[218:219], s[24:25]
	v_mul_f64 v[148:149], v[226:227], s[24:25]
	v_add_f64 v[0:1], v[14:15], v[0:1]
	v_mul_f64 v[14:15], v[38:39], s[38:39]
	v_add_f64 v[4:5], v[12:13], v[4:5]
	v_add_f64 v[6:7], v[32:33], v[6:7]
	v_mul_f64 v[38:39], v[214:215], s[20:21]
	v_mul_f64 v[32:33], v[210:211], s[18:19]
	;; [unrolled: 1-line block ×5, first 2 shown]
	v_fma_f64 v[16:17], v[208:209], s[24:25], v[14:15]
	v_fma_f64 v[10:11], v[208:209], s[24:25], -v[14:15]
	v_mul_f64 v[154:155], v[220:221], s[24:25]
	v_add_f64 v[38:39], v[236:237], v[38:39]
	v_mul_f64 v[158:159], v[220:221], s[18:19]
	v_add_f64 v[12:13], v[12:13], -v[98:99]
	v_add_f64 v[2:3], v[16:17], v[2:3]
	v_mul_f64 v[16:17], v[218:219], s[18:19]
	v_add_f64 v[8:9], v[10:11], v[8:9]
	v_mul_f64 v[10:11], v[204:205], s[22:23]
	v_add_f64 v[38:39], v[130:131], v[38:39]
	v_add_f64 v[12:13], v[128:129], v[12:13]
	v_fma_f64 v[18:19], v[246:247], s[28:29], v[16:17]
	v_fma_f64 v[16:17], v[246:247], s[50:51], v[16:17]
	v_add_f64 v[10:11], v[10:11], -v[44:45]
	v_mul_f64 v[44:45], v[216:217], s[14:15]
	v_add_f64 v[0:1], v[18:19], v[0:1]
	v_mul_f64 v[18:19], v[58:59], s[50:51]
	v_add_f64 v[4:5], v[16:17], v[4:5]
	v_mul_f64 v[16:17], v[212:213], s[18:19]
	v_mul_f64 v[58:59], v[204:205], s[24:25]
	v_add_f64 v[10:11], v[128:129], v[10:11]
	v_add_f64 v[44:45], v[44:45], -v[186:187]
	v_fma_f64 v[20:21], v[216:217], s[18:19], v[18:19]
	v_fma_f64 v[18:19], v[216:217], s[18:19], -v[18:19]
	v_add_f64 v[16:17], v[138:139], v[16:17]
	v_add_f64 v[58:59], v[58:59], -v[76:77]
	v_mul_f64 v[138:139], v[212:213], s[22:23]
	v_mul_f64 v[76:77], v[210:211], s[34:35]
	v_add_f64 v[2:3], v[20:21], v[2:3]
	v_mul_f64 v[20:21], v[228:229], s[22:23]
	v_add_f64 v[6:7], v[16:17], v[6:7]
	;; [unrolled: 2-line block ×3, first 2 shown]
	v_add_f64 v[8:9], v[18:19], v[8:9]
	v_mul_f64 v[18:19], v[206:207], s[18:19]
	v_fma_f64 v[22:23], v[46:47], s[48:49], v[20:21]
	v_fma_f64 v[14:15], v[46:47], s[26:27], v[20:21]
	v_mul_f64 v[46:47], v[214:215], s[22:23]
	v_add_f64 v[16:17], v[16:17], -v[74:75]
	v_mul_f64 v[74:75], v[208:209], s[18:19]
	v_mul_f64 v[20:21], v[204:205], s[20:21]
	v_add_f64 v[0:1], v[22:23], v[0:1]
	v_mul_f64 v[22:23], v[64:65], s[26:27]
	v_mul_f64 v[64:65], v[218:219], s[34:35]
	v_add_f64 v[4:5], v[14:15], v[4:5]
	v_mul_f64 v[14:15], v[228:229], s[14:15]
	v_add_f64 v[72:73], v[74:75], -v[72:73]
	v_add_f64 v[16:17], v[16:17], v[58:59]
	v_add_f64 v[46:47], v[60:61], v[46:47]
	v_add_f64 v[20:21], v[20:21], -v[192:193]
	v_fma_f64 v[24:25], v[226:227], s[22:23], v[22:23]
	v_add_f64 v[64:65], v[136:137], v[64:65]
	v_mul_f64 v[136:137], v[206:207], s[24:25]
	v_add_f64 v[14:15], v[134:135], v[14:15]
	v_mul_f64 v[134:135], v[210:211], s[24:25]
	;; [unrolled: 2-line block ×3, first 2 shown]
	v_add_f64 v[46:47], v[130:131], v[46:47]
	v_add_f64 v[24:25], v[24:25], v[2:3]
	;; [unrolled: 1-line block ×4, first 2 shown]
	v_fma_f64 v[2:3], v[68:69], s[30:31], v[28:29]
	v_fma_f64 v[22:23], v[226:227], s[22:23], -v[22:23]
	v_mul_f64 v[64:65], v[206:207], s[34:35]
	v_add_f64 v[54:55], v[54:55], v[72:73]
	v_mul_f64 v[136:137], v[208:209], s[22:23]
	v_add_f64 v[20:21], v[128:129], v[20:21]
	v_add_f64 v[14:15], v[14:15], v[6:7]
	v_mul_f64 v[6:7], v[216:217], s[34:35]
	v_add_f64 v[46:47], v[56:57], v[46:47]
	v_add_f64 v[2:3], v[2:3], v[0:1]
	v_fma_f64 v[0:1], v[220:221], s[20:21], v[26:27]
	v_add_f64 v[8:9], v[22:23], v[8:9]
	v_mul_f64 v[22:23], v[206:207], s[22:23]
	v_mul_f64 v[60:61], v[208:209], s[34:35]
	;; [unrolled: 1-line block ×3, first 2 shown]
	v_add_f64 v[6:7], v[6:7], -v[66:67]
	v_add_f64 v[46:47], v[54:55], v[46:47]
	v_mul_f64 v[54:55], v[228:229], s[34:35]
	v_add_f64 v[0:1], v[0:1], v[24:25]
	v_fma_f64 v[24:25], v[68:69], s[42:43], v[28:29]
	v_mul_f64 v[66:67], v[212:213], s[34:35]
	v_mul_f64 v[28:29], v[204:205], s[14:15]
	;; [unrolled: 1-line block ×3, first 2 shown]
	v_add_f64 v[6:7], v[6:7], v[16:17]
	v_add_f64 v[46:47], v[52:53], v[46:47]
	;; [unrolled: 1-line block ×3, first 2 shown]
	v_mul_f64 v[54:55], v[224:225], s[18:19]
	v_mul_f64 v[68:69], v[210:211], s[22:23]
	;; [unrolled: 1-line block ×3, first 2 shown]
	v_add_f64 v[28:29], v[28:29], -v[96:97]
	v_mul_f64 v[72:73], v[216:217], s[22:23]
	v_add_f64 v[62:63], v[62:63], v[6:7]
	v_add_f64 v[6:7], v[134:135], -v[40:41]
	v_add_f64 v[46:47], v[50:51], v[46:47]
	v_add_f64 v[48:49], v[48:49], v[54:55]
	v_mul_f64 v[134:135], v[228:229], s[20:21]
	v_mul_f64 v[40:41], v[228:229], s[24:25]
	v_add_f64 v[28:29], v[128:129], v[28:29]
	v_mul_f64 v[52:53], v[226:227], s[20:21]
	v_mul_f64 v[50:51], v[224:225], s[34:35]
	v_add_f64 v[6:7], v[6:7], v[10:11]
	v_fma_f64 v[10:11], v[220:221], s[20:21], -v[26:27]
	v_mul_f64 v[16:17], v[216:217], s[24:25]
	v_mul_f64 v[54:55], v[220:221], s[34:35]
	v_add_f64 v[26:27], v[42:43], v[6:7]
	v_add_f64 v[6:7], v[24:25], v[4:5]
	;; [unrolled: 1-line block ×5, first 2 shown]
	buffer_load_dword v48, off, s[56:59], 0 offset:884 ; 4-byte Folded Reload
	buffer_load_dword v49, off, s[56:59], 0 offset:888 ; 4-byte Folded Reload
	v_add_f64 v[24:25], v[152:153], -v[232:233]
	v_add_f64 v[8:9], v[70:71], v[62:63]
	v_add_f64 v[26:27], v[36:37], v[26:27]
	;; [unrolled: 1-line block ×4, first 2 shown]
	v_add_f64 v[16:17], v[16:17], -v[172:173]
	v_mul_f64 v[42:43], v[224:225], s[14:15]
	v_add_f64 v[46:47], v[158:159], -v[234:235]
	v_add_f64 v[64:65], v[24:25], v[26:27]
	v_add_f64 v[26:27], v[36:37], v[38:39]
	;; [unrolled: 1-line block ×4, first 2 shown]
	v_add_f64 v[62:63], v[76:77], -v[188:189]
	v_add_f64 v[42:43], v[180:181], v[42:43]
	v_add_f64 v[24:25], v[24:25], v[26:27]
	v_add_f64 v[26:27], v[176:177], v[66:67]
	v_add_f64 v[66:67], v[136:137], -v[190:191]
	v_add_f64 v[20:21], v[62:63], v[20:21]
	v_add_f64 v[62:63], v[140:141], -v[184:185]
	v_add_f64 v[20:21], v[66:67], v[20:21]
	v_add_f64 v[20:21], v[44:45], v[20:21]
	s_waitcnt vmcnt(0)
	v_add_f64 v[34:35], v[48:49], v[34:35]
	buffer_load_dword v48, off, s[56:59], 0 offset:828 ; 4-byte Folded Reload
	buffer_load_dword v49, off, s[56:59], 0 offset:832 ; 4-byte Folded Reload
	;; [unrolled: 1-line block ×4, first 2 shown]
	v_add_f64 v[34:35], v[130:131], v[34:35]
	s_waitcnt vmcnt(2)
	v_add_f64 v[48:49], v[130:131], v[48:49]
	s_waitcnt vmcnt(0)
	v_add_f64 v[22:23], v[36:37], v[22:23]
	v_add_f64 v[36:37], v[48:49], v[92:93]
	;; [unrolled: 1-line block ×3, first 2 shown]
	buffer_load_dword v34, off, s[56:59], 0 offset:820 ; 4-byte Folded Reload
	buffer_load_dword v35, off, s[56:59], 0 offset:824 ; 4-byte Folded Reload
	v_add_f64 v[48:49], v[200:201], v[142:143]
	v_add_f64 v[22:23], v[26:27], v[22:23]
	;; [unrolled: 1-line block ×5, first 2 shown]
	s_waitcnt vmcnt(0)
	v_add_f64 v[34:35], v[36:37], v[34:35]
	buffer_load_dword v36, off, s[56:59], 0 offset:812 ; 4-byte Folded Reload
	buffer_load_dword v37, off, s[56:59], 0 offset:816 ; 4-byte Folded Reload
	v_add_f64 v[26:27], v[34:35], v[84:85]
	buffer_load_dword v34, off, s[56:59], 0 offset:804 ; 4-byte Folded Reload
	buffer_load_dword v35, off, s[56:59], 0 offset:808 ; 4-byte Folded Reload
	;; [unrolled: 1-line block ×6, first 2 shown]
	v_add_f64 v[26:27], v[26:27], v[82:83]
	s_waitcnt vmcnt(6)
	v_add_f64 v[36:37], v[38:39], v[36:37]
	v_add_f64 v[38:39], v[198:199], v[150:151]
	s_waitcnt vmcnt(4)
	v_add_f64 v[34:35], v[36:37], v[34:35]
	v_add_f64 v[24:25], v[38:39], v[24:25]
	;; [unrolled: 1-line block ×3, first 2 shown]
	s_waitcnt vmcnt(0)
	v_add_f64 v[30:31], v[44:45], v[30:31]
	v_add_f64 v[36:37], v[144:145], v[156:157]
	;; [unrolled: 1-line block ×3, first 2 shown]
	v_add_f64 v[48:49], v[154:155], -v[194:195]
	v_add_f64 v[22:23], v[38:39], v[22:23]
	buffer_load_dword v38, off, s[56:59], 0 offset:788 ; 4-byte Folded Reload
	buffer_load_dword v39, off, s[56:59], 0 offset:792 ; 4-byte Folded Reload
	v_add_f64 v[30:31], v[130:131], v[30:31]
	v_add_f64 v[22:23], v[42:43], v[22:23]
	s_waitcnt vmcnt(0)
	v_add_f64 v[26:27], v[26:27], v[38:39]
	buffer_load_dword v38, off, s[56:59], 0 offset:780 ; 4-byte Folded Reload
	buffer_load_dword v39, off, s[56:59], 0 offset:784 ; 4-byte Folded Reload
	s_waitcnt vmcnt(0)
	v_add_f64 v[34:35], v[34:35], v[38:39]
	buffer_load_dword v38, off, s[56:59], 0 offset:860 ; 4-byte Folded Reload
	buffer_load_dword v39, off, s[56:59], 0 offset:864 ; 4-byte Folded Reload
	;; [unrolled: 1-line block ×4, first 2 shown]
	s_waitcnt vmcnt(2)
	v_add_f64 v[38:39], v[68:69], -v[38:39]
	s_waitcnt vmcnt(0)
	v_add_f64 v[18:19], v[44:45], v[18:19]
	buffer_load_dword v44, off, s[56:59], 0 offset:844 ; 4-byte Folded Reload
	buffer_load_dword v45, off, s[56:59], 0 offset:848 ; 4-byte Folded Reload
	v_add_f64 v[12:13], v[38:39], v[12:13]
	v_add_f64 v[18:19], v[18:19], v[30:31]
	v_add_f64 v[30:31], v[74:75], -v[86:87]
	v_add_f64 v[38:39], v[72:73], -v[88:89]
	s_waitcnt vmcnt(0)
	v_add_f64 v[32:33], v[32:33], -v[44:45]
	buffer_load_dword v44, off, s[56:59], 0 offset:772 ; 4-byte Folded Reload
	buffer_load_dword v45, off, s[56:59], 0 offset:776 ; 4-byte Folded Reload
	v_add_f64 v[28:29], v[32:33], v[28:29]
	v_add_f64 v[28:29], v[30:31], v[28:29]
	v_add_f64 v[30:31], v[52:53], -v[174:175]
	v_add_f64 v[52:53], v[62:63], v[20:21]
	v_add_f64 v[28:29], v[38:39], v[28:29]
	;; [unrolled: 1-line block ×3, first 2 shown]
	s_waitcnt vmcnt(0)
	v_add_f64 v[26:27], v[26:27], v[44:45]
	buffer_load_dword v44, off, s[56:59], 0 offset:764 ; 4-byte Folded Reload
	buffer_load_dword v45, off, s[56:59], 0 offset:768 ; 4-byte Folded Reload
	s_waitcnt vmcnt(0)
	v_add_f64 v[34:35], v[34:35], v[44:45]
	buffer_load_dword v44, off, s[56:59], 0 offset:916 ; 4-byte Folded Reload
	buffer_load_dword v45, off, s[56:59], 0 offset:920 ; 4-byte Folded Reload
	s_waitcnt vmcnt(0)
	v_add_f64 v[44:45], v[60:61], -v[44:45]
	buffer_load_dword v60, off, s[56:59], 0 offset:868 ; 4-byte Folded Reload
	buffer_load_dword v61, off, s[56:59], 0 offset:872 ; 4-byte Folded Reload
	v_add_f64 v[12:13], v[44:45], v[12:13]
	v_add_f64 v[12:13], v[16:17], v[12:13]
	v_add_f64 v[16:17], v[146:147], -v[170:171]
	v_add_f64 v[12:13], v[30:31], v[12:13]
	s_waitcnt vmcnt(0)
	v_add_f64 v[58:59], v[60:61], v[58:59]
	buffer_load_dword v60, off, s[56:59], 0 offset:756 ; 4-byte Folded Reload
	buffer_load_dword v61, off, s[56:59], 0 offset:760 ; 4-byte Folded Reload
	v_add_f64 v[18:19], v[58:59], v[18:19]
	s_waitcnt vmcnt(0)
	v_add_f64 v[26:27], v[26:27], v[60:61]
	buffer_load_dword v60, off, s[56:59], 0 offset:748 ; 4-byte Folded Reload
	buffer_load_dword v61, off, s[56:59], 0 offset:752 ; 4-byte Folded Reload
	buffer_load_dword v32, off, s[56:59], 0 offset:876 ; 4-byte Folded Reload
	buffer_load_dword v33, off, s[56:59], 0 offset:880 ; 4-byte Folded Reload
	s_waitcnt vmcnt(2)
	v_add_f64 v[34:35], v[34:35], v[60:61]
	s_waitcnt vmcnt(0)
	v_add_f64 v[32:33], v[32:33], v[56:57]
	buffer_load_dword v56, off, s[56:59], 0 offset:740 ; 4-byte Folded Reload
	buffer_load_dword v57, off, s[56:59], 0 offset:744 ; 4-byte Folded Reload
	v_add_f64 v[18:19], v[32:33], v[18:19]
	s_waitcnt vmcnt(0)
	v_add_f64 v[26:27], v[26:27], v[56:57]
	buffer_load_dword v56, off, s[56:59], 0 offset:564 ; 4-byte Folded Reload
	buffer_load_dword v57, off, s[56:59], 0 offset:568 ; 4-byte Folded Reload
	buffer_load_dword v44, off, s[56:59], 0 offset:900 ; 4-byte Folded Reload
	buffer_load_dword v45, off, s[56:59], 0 offset:904 ; 4-byte Folded Reload
	buffer_load_dword v32, off, s[56:59], 0 offset:892 ; 4-byte Folded Reload
	buffer_load_dword v33, off, s[56:59], 0 offset:896 ; 4-byte Folded Reload
	s_waitcnt vmcnt(4)
	v_add_f64 v[34:35], v[34:35], v[56:57]
	s_waitcnt vmcnt(2)
	v_add_f64 v[40:41], v[44:45], v[40:41]
	buffer_load_dword v44, off, s[56:59], 0 offset:540 ; 4-byte Folded Reload
	buffer_load_dword v45, off, s[56:59], 0 offset:544 ; 4-byte Folded Reload
	s_waitcnt vmcnt(2)
	v_add_f64 v[32:33], v[148:149], -v[32:33]
	v_add_f64 v[40:41], v[40:41], v[18:19]
	v_add_f64 v[32:33], v[32:33], v[28:29]
	s_waitcnt vmcnt(0)
	v_add_f64 v[26:27], v[26:27], v[44:45]
	buffer_load_dword v44, off, s[56:59], 0 offset:524 ; 4-byte Folded Reload
	buffer_load_dword v45, off, s[56:59], 0 offset:528 ; 4-byte Folded Reload
	;; [unrolled: 1-line block ×4, first 2 shown]
	s_waitcnt vmcnt(2)
	v_add_f64 v[34:35], v[34:35], v[44:45]
	s_waitcnt vmcnt(0)
	v_add_f64 v[50:51], v[26:27], v[18:19]
	buffer_load_dword v18, off, s[56:59], 0 offset:476 ; 4-byte Folded Reload
	buffer_load_dword v19, off, s[56:59], 0 offset:480 ; 4-byte Folded Reload
	buffer_load_dword v20, off, s[56:59], 0 offset:492 ; 4-byte Folded Reload
	buffer_load_dword v21, off, s[56:59], 0 offset:496 ; 4-byte Folded Reload
	v_add_f64 v[44:45], v[54:55], -v[252:253]
	v_add_f64 v[26:27], v[38:39], v[40:41]
	s_waitcnt vmcnt(2)
	v_add_f64 v[34:35], v[34:35], v[18:19]
	s_waitcnt vmcnt(0)
	v_add_f64 v[30:31], v[50:51], v[20:21]
	buffer_load_dword v20, off, s[56:59], 0 offset:460 ; 4-byte Folded Reload
	buffer_load_dword v21, off, s[56:59], 0 offset:464 ; 4-byte Folded Reload
	v_add_f64 v[18:19], v[36:37], v[24:25]
	v_add_f64 v[24:25], v[44:45], v[32:33]
	buffer_load_dword v32, off, s[56:59], 0 offset:440 ; 4-byte Folded Reload
	buffer_load_dword v33, off, s[56:59], 0 offset:8 ; 4-byte Folded Reload
	s_waitcnt vmcnt(2)
	v_add_f64 v[28:29], v[34:35], v[20:21]
	v_add_f64 v[20:21], v[16:17], v[12:13]
	;; [unrolled: 1-line block ×4, first 2 shown]
	s_waitcnt vmcnt(1)
	v_mul_u32_u24_e32 v32, 52, v32
	s_waitcnt vmcnt(0)
	v_or_b32_e32 v32, v32, v33
	v_lshlrev_b32_e32 v32, 4, v32
	ds_write_b128 v32, v[28:31]
	ds_write_b128 v32, v[24:27] offset:64
	ds_write_b128 v32, v[20:23] offset:128
	;; [unrolled: 1-line block ×8, first 2 shown]
	buffer_load_dword v0, off, s[56:59], 0 offset:76 ; 4-byte Folded Reload
	buffer_load_dword v1, off, s[56:59], 0 offset:80 ; 4-byte Folded Reload
	buffer_load_dword v2, off, s[56:59], 0 offset:84 ; 4-byte Folded Reload
	buffer_load_dword v3, off, s[56:59], 0 offset:88 ; 4-byte Folded Reload
	s_waitcnt vmcnt(0)
	ds_write_b128 v32, v[0:3] offset:576
	buffer_load_dword v0, off, s[56:59], 0 offset:60 ; 4-byte Folded Reload
	buffer_load_dword v1, off, s[56:59], 0 offset:64 ; 4-byte Folded Reload
	buffer_load_dword v2, off, s[56:59], 0 offset:68 ; 4-byte Folded Reload
	buffer_load_dword v3, off, s[56:59], 0 offset:72 ; 4-byte Folded Reload
	s_waitcnt vmcnt(0)
	ds_write_b128 v32, v[0:3] offset:640
	;; [unrolled: 6-line block ×4, first 2 shown]
.LBB0_15:
	s_or_b64 exec, exec, s[54:55]
	v_mov_b32_e32 v0, s17
	v_addc_co_u32_e64 v199, vcc, 0, v0, s[6:7]
	s_waitcnt lgkmcnt(0)
	; wave barrier
	s_waitcnt lgkmcnt(0)
	ds_read_b128 v[8:11], v196
	ds_read_b128 v[20:23], v196 offset:2496
	ds_read_b128 v[24:27], v196 offset:4992
	;; [unrolled: 1-line block ×20, first 2 shown]
	buffer_load_dword v128, off, s[56:59], 0 ; 4-byte Folded Reload
	v_mov_b32_e32 v157, s5
	s_movk_i32 s6, 0x60
	v_mov_b32_e32 v156, s4
	s_movk_i32 s7, 0x4f
	s_mov_b32 s18, 0xe976ee23
	s_mov_b32 s19, 0xbfe11646
	;; [unrolled: 1-line block ×16, first 2 shown]
	s_waitcnt vmcnt(0)
	v_mad_u64_u32 v[152:153], s[14:15], v128, s6, v[156:157]
	global_load_dwordx4 v[128:131], v[152:153], off offset:848
	global_load_dwordx4 v[132:135], v[152:153], off offset:832
	;; [unrolled: 1-line block ×4, first 2 shown]
	s_mov_b32 s14, 0x37e14327
	s_mov_b32 s15, 0x3fe948f6
	s_waitcnt vmcnt(0) lgkmcnt(14)
	v_mul_f64 v[140:141], v[22:23], v[146:147]
	v_fma_f64 v[176:177], v[20:21], v[144:145], -v[140:141]
	global_load_dwordx4 v[140:143], v[152:153], off offset:880
	s_nop 0
	global_load_dwordx4 v[152:155], v[152:153], off offset:864
	v_mul_f64 v[20:21], v[20:21], v[146:147]
	v_fma_f64 v[178:179], v[22:23], v[144:145], v[20:21]
	v_mul_f64 v[20:21], v[26:27], v[138:139]
	v_fma_f64 v[180:181], v[24:25], v[136:137], -v[20:21]
	v_mul_f64 v[20:21], v[24:25], v[138:139]
	v_fma_f64 v[182:183], v[26:27], v[136:137], v[20:21]
	v_mul_f64 v[20:21], v[30:31], v[134:135]
	v_fma_f64 v[184:185], v[28:29], v[132:133], -v[20:21]
	;; [unrolled: 4-line block ×3, first 2 shown]
	v_mul_f64 v[20:21], v[32:33], v[130:131]
	v_fma_f64 v[190:191], v[34:35], v[128:129], v[20:21]
	s_waitcnt vmcnt(0)
	v_mul_f64 v[20:21], v[38:39], v[154:155]
	v_fma_f64 v[192:193], v[36:37], v[152:153], -v[20:21]
	v_mul_f64 v[20:21], v[36:37], v[154:155]
	v_fma_f64 v[194:195], v[38:39], v[152:153], v[20:21]
	v_mul_f64 v[20:21], v[42:43], v[142:143]
	v_fma_f64 v[200:201], v[40:41], v[140:141], -v[20:21]
	v_mul_f64 v[20:21], v[40:41], v[142:143]
	v_fma_f64 v[202:203], v[42:43], v[140:141], v[20:21]
	s_waitcnt lgkmcnt(12)
	v_mul_f64 v[20:21], v[46:47], v[146:147]
	v_fma_f64 v[36:37], v[44:45], v[144:145], -v[20:21]
	v_mul_f64 v[20:21], v[44:45], v[146:147]
	v_fma_f64 v[42:43], v[46:47], v[144:145], v[20:21]
	s_waitcnt lgkmcnt(11)
	;; [unrolled: 5-line block ×6, first 2 shown]
	v_mul_f64 v[20:21], v[66:67], v[142:143]
	v_fma_f64 v[56:57], v[64:65], v[140:141], -v[20:21]
	v_mul_f64 v[20:21], v[64:65], v[142:143]
	v_fma_f64 v[58:59], v[66:67], v[140:141], v[20:21]
	buffer_load_dword v21, off, s[56:59], 0 offset:444 ; 4-byte Folded Reload
	s_waitcnt vmcnt(0)
	v_mul_lo_u16_sdwa v20, v21, s7 dst_sel:DWORD dst_unused:UNUSED_PAD src0_sel:BYTE_0 src1_sel:DWORD
	v_lshrrev_b16_e32 v20, 12, v20
	v_mul_lo_u16_e32 v20, 52, v20
	v_sub_u16_e32 v20, v21, v20
	v_and_b32_e32 v60, 0xff, v20
	v_mad_u64_u32 v[61:62], s[6:7], v60, s6, v[156:157]
	global_load_dwordx4 v[63:66], v[61:62], off offset:848
	global_load_dwordx4 v[32:35], v[61:62], off offset:832
	;; [unrolled: 1-line block ×4, first 2 shown]
	s_mov_b32 s6, 0x36b3c0b5
	s_mov_b32 s7, 0x3fac98ee
	s_waitcnt vmcnt(0) lgkmcnt(5)
	v_mul_f64 v[20:21], v[70:71], v[26:27]
	v_mul_f64 v[22:23], v[68:69], v[26:27]
	v_fma_f64 v[20:21], v[68:69], v[24:25], -v[20:21]
	buffer_store_dword v24, off, s[56:59], 0 offset:508 ; 4-byte Folded Spill
	s_nop 0
	buffer_store_dword v25, off, s[56:59], 0 offset:512 ; 4-byte Folded Spill
	buffer_store_dword v26, off, s[56:59], 0 offset:516 ; 4-byte Folded Spill
	;; [unrolled: 1-line block ×3, first 2 shown]
	v_fma_f64 v[26:27], v[70:71], v[24:25], v[22:23]
	s_waitcnt lgkmcnt(4)
	v_mul_f64 v[22:23], v[74:75], v[30:31]
	v_mul_f64 v[24:25], v[72:73], v[30:31]
	v_fma_f64 v[22:23], v[72:73], v[28:29], -v[22:23]
	buffer_store_dword v28, off, s[56:59], 0 offset:492 ; 4-byte Folded Spill
	s_nop 0
	buffer_store_dword v29, off, s[56:59], 0 offset:496 ; 4-byte Folded Spill
	buffer_store_dword v30, off, s[56:59], 0 offset:500 ; 4-byte Folded Spill
	;; [unrolled: 1-line block ×3, first 2 shown]
	s_waitcnt lgkmcnt(3)
	v_mul_f64 v[30:31], v[76:77], v[34:35]
	v_add_f64 v[71:72], v[186:187], v[190:191]
	v_fma_f64 v[28:29], v[74:75], v[28:29], v[24:25]
	v_mul_f64 v[24:25], v[78:79], v[34:35]
	v_add_f64 v[73:74], v[188:189], -v[184:185]
	v_fma_f64 v[24:25], v[76:77], v[32:33], -v[24:25]
	buffer_store_dword v32, off, s[56:59], 0 offset:476 ; 4-byte Folded Spill
	s_nop 0
	buffer_store_dword v33, off, s[56:59], 0 offset:480 ; 4-byte Folded Spill
	buffer_store_dword v34, off, s[56:59], 0 offset:484 ; 4-byte Folded Spill
	;; [unrolled: 1-line block ×3, first 2 shown]
	s_waitcnt lgkmcnt(2)
	v_mul_f64 v[34:35], v[148:149], v[65:66]
	v_add_f64 v[75:76], v[190:191], -v[186:187]
	v_fma_f64 v[30:31], v[78:79], v[32:33], v[30:31]
	v_mul_f64 v[32:33], v[150:151], v[65:66]
	v_fma_f64 v[32:33], v[148:149], v[63:64], -v[32:33]
	buffer_store_dword v63, off, s[56:59], 0 offset:460 ; 4-byte Folded Spill
	s_nop 0
	buffer_store_dword v64, off, s[56:59], 0 offset:464 ; 4-byte Folded Spill
	buffer_store_dword v65, off, s[56:59], 0 offset:468 ; 4-byte Folded Spill
	;; [unrolled: 1-line block ×3, first 2 shown]
	v_mov_b32_e32 v148, s5
	s_movk_i32 s5, 0x1000
	v_fma_f64 v[34:35], v[150:151], v[63:64], v[34:35]
	global_load_dwordx4 v[63:66], v[61:62], off offset:880
	global_load_dwordx4 v[67:70], v[61:62], off offset:864
	s_waitcnt vmcnt(0) lgkmcnt(1)
	v_mul_f64 v[61:62], v[18:19], v[69:70]
	v_fma_f64 v[77:78], v[16:17], v[67:68], -v[61:62]
	v_mul_f64 v[16:17], v[16:17], v[69:70]
	buffer_store_dword v67, off, s[56:59], 0 offset:524 ; 4-byte Folded Spill
	s_nop 0
	buffer_store_dword v68, off, s[56:59], 0 offset:528 ; 4-byte Folded Spill
	buffer_store_dword v69, off, s[56:59], 0 offset:532 ; 4-byte Folded Spill
	;; [unrolled: 1-line block ×3, first 2 shown]
	v_add_f64 v[61:62], v[180:181], v[192:193]
	v_add_f64 v[69:70], v[184:185], v[188:189]
	v_fma_f64 v[204:205], v[18:19], v[67:68], v[16:17]
	s_waitcnt lgkmcnt(0)
	v_mul_f64 v[16:17], v[14:15], v[65:66]
	v_add_f64 v[18:19], v[178:179], -v[202:203]
	v_add_f64 v[67:68], v[182:183], -v[194:195]
	v_fma_f64 v[206:207], v[12:13], v[63:64], -v[16:17]
	v_mul_f64 v[12:13], v[12:13], v[65:66]
	buffer_store_dword v63, off, s[56:59], 0 offset:444 ; 4-byte Folded Spill
	s_nop 0
	buffer_store_dword v64, off, s[56:59], 0 offset:448 ; 4-byte Folded Spill
	buffer_store_dword v65, off, s[56:59], 0 offset:452 ; 4-byte Folded Spill
	buffer_store_dword v66, off, s[56:59], 0 offset:456 ; 4-byte Folded Spill
	v_add_f64 v[16:17], v[176:177], -v[200:201]
	v_add_f64 v[65:66], v[180:181], -v[192:193]
	v_add_f64 v[186:187], v[75:76], v[67:68]
	v_add_f64 v[190:191], v[75:76], -v[67:68]
	v_add_f64 v[75:76], v[18:19], -v[75:76]
	;; [unrolled: 1-line block ×3, first 2 shown]
	s_waitcnt lgkmcnt(0)
	; wave barrier
	v_add_f64 v[184:185], v[73:74], v[65:66]
	v_add_f64 v[188:189], v[73:74], -v[65:66]
	v_add_f64 v[73:74], v[16:17], -v[73:74]
	;; [unrolled: 1-line block ×3, first 2 shown]
	v_add_f64 v[18:19], v[186:187], v[18:19]
	v_mul_f64 v[186:187], v[190:191], s[18:19]
	v_mul_f64 v[190:191], v[67:68], s[16:17]
	v_add_f64 v[16:17], v[184:185], v[16:17]
	v_mul_f64 v[184:185], v[188:189], s[18:19]
	v_mul_f64 v[188:189], v[65:66], s[16:17]
	v_fma_f64 v[67:68], v[67:68], s[16:17], -v[186:187]
	v_fma_f64 v[65:66], v[65:66], s[16:17], -v[184:185]
	v_fma_f64 v[208:209], v[14:15], v[63:64], v[12:13]
	v_add_f64 v[12:13], v[176:177], v[200:201]
	v_add_f64 v[14:15], v[178:179], v[202:203]
	;; [unrolled: 1-line block ×4, first 2 shown]
	v_add_f64 v[180:181], v[61:62], -v[12:13]
	v_add_f64 v[178:179], v[63:64], v[14:15]
	v_add_f64 v[182:183], v[63:64], -v[14:15]
	v_add_f64 v[12:13], v[12:13], -v[69:70]
	v_add_f64 v[14:15], v[14:15], -v[71:72]
	v_add_f64 v[61:62], v[69:70], -v[61:62]
	v_add_f64 v[63:64], v[71:72], -v[63:64]
	v_add_f64 v[69:70], v[69:70], v[176:177]
	v_add_f64 v[71:72], v[71:72], v[178:179]
	v_mul_f64 v[12:13], v[12:13], s[14:15]
	v_mul_f64 v[14:15], v[14:15], s[14:15]
	v_mul_f64 v[176:177], v[61:62], s[6:7]
	v_mul_f64 v[178:179], v[63:64], s[6:7]
	v_add_f64 v[8:9], v[8:9], v[69:70]
	v_add_f64 v[10:11], v[10:11], v[71:72]
	v_fma_f64 v[61:62], v[61:62], s[6:7], v[12:13]
	v_fma_f64 v[63:64], v[63:64], s[6:7], v[14:15]
	v_fma_f64 v[176:177], v[180:181], s[22:23], -v[176:177]
	v_fma_f64 v[178:179], v[182:183], s[22:23], -v[178:179]
	v_fma_f64 v[69:70], v[69:70], s[20:21], v[8:9]
	v_fma_f64 v[12:13], v[180:181], s[26:27], -v[12:13]
	v_fma_f64 v[71:72], v[71:72], s[20:21], v[10:11]
	v_fma_f64 v[180:181], v[73:74], s[28:29], v[184:185]
	v_fma_f64 v[73:74], v[73:74], s[30:31], -v[188:189]
	v_fma_f64 v[188:189], v[16:17], s[24:25], v[65:66]
	v_fma_f64 v[65:66], v[18:19], s[24:25], v[67:68]
	v_fma_f64 v[14:15], v[182:183], s[26:27], -v[14:15]
	v_add_f64 v[176:177], v[176:177], v[69:70]
	v_fma_f64 v[182:183], v[75:76], s[28:29], v[186:187]
	v_add_f64 v[178:179], v[178:179], v[71:72]
	v_fma_f64 v[75:76], v[75:76], s[30:31], -v[190:191]
	v_add_f64 v[184:185], v[61:62], v[69:70]
	v_add_f64 v[186:187], v[63:64], v[71:72]
	;; [unrolled: 1-line block ×4, first 2 shown]
	v_add_f64 v[61:62], v[176:177], -v[65:66]
	v_add_f64 v[65:66], v[65:66], v[176:177]
	v_add_f64 v[63:64], v[188:189], v[178:179]
	v_add_f64 v[67:68], v[178:179], -v[188:189]
	v_add_f64 v[176:177], v[36:37], v[56:57]
	v_add_f64 v[178:179], v[42:43], v[58:59]
	v_add_f64 v[36:37], v[36:37], -v[56:57]
	v_add_f64 v[42:43], v[42:43], -v[58:59]
	v_add_f64 v[56:57], v[38:39], v[52:53]
	v_add_f64 v[58:59], v[44:45], v[54:55]
	v_fma_f64 v[180:181], v[16:17], s[24:25], v[180:181]
	v_fma_f64 v[182:183], v[18:19], s[24:25], v[182:183]
	;; [unrolled: 1-line block ×4, first 2 shown]
	v_add_f64 v[38:39], v[38:39], -v[52:53]
	v_add_f64 v[44:45], v[44:45], -v[54:55]
	v_add_f64 v[52:53], v[40:41], v[48:49]
	v_add_f64 v[54:55], v[46:47], v[50:51]
	v_add_f64 v[40:41], v[48:49], -v[40:41]
	v_add_f64 v[46:47], v[50:51], -v[46:47]
	v_add_f64 v[48:49], v[56:57], v[176:177]
	v_add_f64 v[50:51], v[58:59], v[178:179]
	;; [unrolled: 1-line block ×3, first 2 shown]
	v_add_f64 v[14:15], v[186:187], -v[180:181]
	v_add_f64 v[16:17], v[75:76], v[69:70]
	v_add_f64 v[18:19], v[71:72], -v[73:74]
	v_add_f64 v[69:70], v[69:70], -v[75:76]
	v_add_f64 v[71:72], v[73:74], v[71:72]
	v_add_f64 v[73:74], v[184:185], -v[182:183]
	v_add_f64 v[75:76], v[180:181], v[186:187]
	v_add_f64 v[180:181], v[56:57], -v[176:177]
	v_add_f64 v[182:183], v[58:59], -v[178:179]
	v_add_f64 v[176:177], v[176:177], -v[52:53]
	v_add_f64 v[178:179], v[178:179], -v[54:55]
	v_add_f64 v[56:57], v[52:53], -v[56:57]
	v_add_f64 v[58:59], v[54:55], -v[58:59]
	v_add_f64 v[184:185], v[40:41], v[38:39]
	v_add_f64 v[186:187], v[46:47], v[44:45]
	v_add_f64 v[188:189], v[40:41], -v[38:39]
	v_add_f64 v[190:191], v[46:47], -v[44:45]
	v_add_f64 v[48:49], v[52:53], v[48:49]
	v_add_f64 v[50:51], v[54:55], v[50:51]
	v_add_f64 v[40:41], v[36:37], -v[40:41]
	v_add_f64 v[46:47], v[42:43], -v[46:47]
	;; [unrolled: 1-line block ×4, first 2 shown]
	v_add_f64 v[36:37], v[184:185], v[36:37]
	v_add_f64 v[42:43], v[186:187], v[42:43]
	;; [unrolled: 1-line block ×4, first 2 shown]
	v_mul_f64 v[52:53], v[176:177], s[14:15]
	v_mul_f64 v[54:55], v[178:179], s[14:15]
	;; [unrolled: 1-line block ×8, first 2 shown]
	v_fma_f64 v[48:49], v[48:49], s[20:21], v[4:5]
	v_fma_f64 v[50:51], v[50:51], s[20:21], v[6:7]
	;; [unrolled: 1-line block ×4, first 2 shown]
	v_fma_f64 v[176:177], v[180:181], s[22:23], -v[176:177]
	v_fma_f64 v[178:179], v[182:183], s[22:23], -v[178:179]
	;; [unrolled: 1-line block ×4, first 2 shown]
	v_fma_f64 v[180:181], v[40:41], s[28:29], v[184:185]
	v_fma_f64 v[182:183], v[46:47], s[28:29], v[186:187]
	v_fma_f64 v[38:39], v[38:39], s[16:17], -v[184:185]
	v_fma_f64 v[44:45], v[44:45], s[16:17], -v[186:187]
	;; [unrolled: 1-line block ×4, first 2 shown]
	v_add_f64 v[56:57], v[56:57], v[48:49]
	v_add_f64 v[58:59], v[58:59], v[50:51]
	;; [unrolled: 1-line block ×6, first 2 shown]
	v_fma_f64 v[180:181], v[36:37], s[24:25], v[180:181]
	v_fma_f64 v[182:183], v[42:43], s[24:25], v[182:183]
	;; [unrolled: 1-line block ×6, first 2 shown]
	v_add_f64 v[38:39], v[58:59], -v[180:181]
	v_add_f64 v[36:37], v[182:183], v[56:57]
	v_add_f64 v[46:47], v[50:51], v[178:179]
	v_add_f64 v[44:45], v[176:177], -v[48:49]
	v_add_f64 v[48:49], v[48:49], v[176:177]
	v_add_f64 v[50:51], v[178:179], -v[50:51]
	v_add_f64 v[56:57], v[56:57], -v[182:183]
	v_add_f64 v[58:59], v[180:181], v[58:59]
	v_add_f64 v[176:177], v[20:21], v[206:207]
	;; [unrolled: 1-line block ×5, first 2 shown]
	v_add_f64 v[42:43], v[54:55], -v[184:185]
	v_add_f64 v[54:55], v[184:185], v[54:55]
	v_add_f64 v[22:23], v[22:23], -v[77:78]
	v_add_f64 v[28:29], v[28:29], -v[204:205]
	v_add_f64 v[77:78], v[24:25], v[32:33]
	v_add_f64 v[184:185], v[30:31], v[34:35]
	v_add_f64 v[24:25], v[32:33], -v[24:25]
	v_add_f64 v[30:31], v[34:35], -v[30:31]
	v_add_f64 v[32:33], v[180:181], v[176:177]
	;; [unrolled: 4-line block ×3, first 2 shown]
	v_add_f64 v[52:53], v[52:53], -v[186:187]
	v_add_f64 v[186:187], v[180:181], -v[176:177]
	;; [unrolled: 1-line block ×7, first 2 shown]
	v_add_f64 v[190:191], v[24:25], v[22:23]
	v_add_f64 v[192:193], v[30:31], v[28:29]
	v_add_f64 v[194:195], v[24:25], -v[22:23]
	v_add_f64 v[200:201], v[30:31], -v[28:29]
	v_add_f64 v[32:33], v[77:78], v[32:33]
	v_add_f64 v[34:35], v[184:185], v[34:35]
	v_add_f64 v[22:23], v[22:23], -v[20:21]
	v_add_f64 v[28:29], v[28:29], -v[26:27]
	;; [unrolled: 1-line block ×4, first 2 shown]
	v_add_f64 v[20:21], v[190:191], v[20:21]
	v_add_f64 v[26:27], v[192:193], v[26:27]
	;; [unrolled: 1-line block ×4, first 2 shown]
	v_mul_f64 v[77:78], v[176:177], s[14:15]
	v_mul_f64 v[176:177], v[178:179], s[14:15]
	;; [unrolled: 1-line block ×8, first 2 shown]
	v_fma_f64 v[32:33], v[32:33], s[20:21], v[0:1]
	v_fma_f64 v[34:35], v[34:35], s[20:21], v[2:3]
	;; [unrolled: 1-line block ×4, first 2 shown]
	v_fma_f64 v[178:179], v[186:187], s[22:23], -v[178:179]
	v_fma_f64 v[184:185], v[188:189], s[22:23], -v[184:185]
	;; [unrolled: 1-line block ×4, first 2 shown]
	v_fma_f64 v[186:187], v[24:25], s[28:29], v[190:191]
	v_fma_f64 v[188:189], v[30:31], s[28:29], v[192:193]
	v_fma_f64 v[24:25], v[24:25], s[30:31], -v[194:195]
	v_fma_f64 v[30:31], v[30:31], s[30:31], -v[200:201]
	;; [unrolled: 1-line block ×4, first 2 shown]
	v_add_f64 v[180:181], v[180:181], v[32:33]
	v_add_f64 v[182:183], v[182:183], v[34:35]
	v_fma_f64 v[186:187], v[20:21], s[24:25], v[186:187]
	v_fma_f64 v[188:189], v[26:27], s[24:25], v[188:189]
	v_add_f64 v[77:78], v[77:78], v[32:33]
	v_add_f64 v[190:191], v[176:177], v[34:35]
	v_fma_f64 v[192:193], v[20:21], s[24:25], v[24:25]
	v_fma_f64 v[176:177], v[26:27], s[24:25], v[30:31]
	;; [unrolled: 4-line block ×3, first 2 shown]
	v_add_f64 v[20:21], v[188:189], v[180:181]
	v_add_f64 v[22:23], v[182:183], -v[186:187]
	v_add_f64 v[180:181], v[180:181], -v[188:189]
	v_add_f64 v[182:183], v[186:187], v[182:183]
	v_add_f64 v[24:25], v[176:177], v[77:78]
	v_add_f64 v[26:27], v[190:191], -v[192:193]
	v_add_f64 v[30:31], v[34:35], v[184:185]
	v_add_f64 v[28:29], v[178:179], -v[32:33]
	v_add_f64 v[32:33], v[32:33], v[178:179]
	v_add_f64 v[34:35], v[184:185], -v[34:35]
	v_add_f64 v[176:177], v[77:78], -v[176:177]
	v_add_f64 v[178:179], v[192:193], v[190:191]
	ds_write_b128 v196, v[8:11]
	ds_write_b128 v196, v[12:15] offset:832
	ds_write_b128 v196, v[16:19] offset:1664
	ds_write_b128 v196, v[61:64] offset:2496
	ds_write_b128 v196, v[65:68] offset:3328
	ds_write_b128 v196, v[69:72] offset:4160
	ds_write_b128 v196, v[73:76] offset:4992
	ds_write_b128 v196, v[4:7] offset:5824
	ds_write_b128 v196, v[36:39] offset:6656
	ds_write_b128 v196, v[40:43] offset:7488
	ds_write_b128 v196, v[44:47] offset:8320
	ds_write_b128 v196, v[48:51] offset:9152
	ds_write_b128 v196, v[52:55] offset:9984
	ds_write_b128 v196, v[56:59] offset:10816
	v_lshlrev_b32_e32 v4, 4, v60
	ds_write_b128 v4, v[0:3] offset:11648
	ds_write_b128 v4, v[20:23] offset:12480
	;; [unrolled: 1-line block ×6, first 2 shown]
	buffer_store_dword v4, off, s[56:59], 0 offset:540 ; 4-byte Folded Spill
	ds_write_b128 v4, v[180:183] offset:16640
	s_waitcnt lgkmcnt(0)
	; wave barrier
	s_waitcnt lgkmcnt(0)
	ds_read_b128 v[24:27], v196
	ds_read_b128 v[36:39], v196 offset:5824
	ds_read_b128 v[40:43], v196 offset:11648
	;; [unrolled: 1-line block ×20, first 2 shown]
	buffer_load_dword v60, off, s[56:59], 0 offset:548 ; 4-byte Folded Reload
	s_movk_i32 s6, 0x16a0
	s_mov_b32 s7, 0xbfebb67a
	s_waitcnt vmcnt(0)
	v_add_co_u32_e32 v62, vcc, s4, v60
	v_addc_co_u32_e32 v63, vcc, 0, v148, vcc
	v_add_co_u32_e32 v60, vcc, s6, v62
	v_addc_co_u32_e32 v61, vcc, 0, v63, vcc
	;; [unrolled: 2-line block ×3, first 2 shown]
	global_load_dwordx4 v[62:65], v[62:63], off offset:1696
	s_nop 0
	global_load_dwordx4 v[66:69], v[60:61], off offset:16
	s_waitcnt vmcnt(1) lgkmcnt(14)
	v_mul_f64 v[60:61], v[38:39], v[64:65]
	v_fma_f64 v[76:77], v[36:37], v[62:63], -v[60:61]
	v_mul_f64 v[36:37], v[36:37], v[64:65]
	buffer_store_dword v62, off, s[56:59], 0 offset:548 ; 4-byte Folded Spill
	s_nop 0
	buffer_store_dword v63, off, s[56:59], 0 offset:552 ; 4-byte Folded Spill
	buffer_store_dword v64, off, s[56:59], 0 offset:556 ; 4-byte Folded Spill
	;; [unrolled: 1-line block ×3, first 2 shown]
	v_fma_f64 v[78:79], v[38:39], v[62:63], v[36:37]
	s_waitcnt vmcnt(4)
	v_mul_f64 v[36:37], v[42:43], v[68:69]
	v_fma_f64 v[232:233], v[40:41], v[66:67], -v[36:37]
	v_mul_f64 v[36:37], v[40:41], v[68:69]
	buffer_store_dword v66, off, s[56:59], 0 offset:564 ; 4-byte Folded Spill
	s_nop 0
	buffer_store_dword v67, off, s[56:59], 0 offset:568 ; 4-byte Folded Spill
	buffer_store_dword v68, off, s[56:59], 0 offset:572 ; 4-byte Folded Spill
	;; [unrolled: 1-line block ×3, first 2 shown]
	v_fma_f64 v[234:235], v[42:43], v[66:67], v[36:37]
	buffer_load_dword v36, off, s[56:59], 0 offset:580 ; 4-byte Folded Reload
	s_waitcnt vmcnt(0)
	v_lshlrev_b32_e32 v36, 4, v36
	v_add_co_u32_e32 v38, vcc, s4, v36
	v_addc_co_u32_e32 v39, vcc, 0, v148, vcc
	v_add_co_u32_e32 v36, vcc, s6, v38
	v_addc_co_u32_e32 v37, vcc, 0, v39, vcc
	;; [unrolled: 2-line block ×3, first 2 shown]
	global_load_dwordx4 v[188:191], v[38:39], off offset:1696
	s_nop 0
	global_load_dwordx4 v[38:41], v[36:37], off offset:16
	s_waitcnt vmcnt(1)
	v_mul_f64 v[36:37], v[46:47], v[190:191]
	v_fma_f64 v[68:69], v[44:45], v[188:189], -v[36:37]
	v_mul_f64 v[36:37], v[44:45], v[190:191]
	v_fma_f64 v[70:71], v[46:47], v[188:189], v[36:37]
	s_waitcnt vmcnt(0)
	v_mul_f64 v[36:37], v[50:51], v[40:41]
	v_fma_f64 v[72:73], v[48:49], v[38:39], -v[36:37]
	v_mul_f64 v[36:37], v[48:49], v[40:41]
	buffer_store_dword v38, off, s[56:59], 0 offset:580 ; 4-byte Folded Spill
	s_nop 0
	buffer_store_dword v39, off, s[56:59], 0 offset:584 ; 4-byte Folded Spill
	buffer_store_dword v40, off, s[56:59], 0 offset:588 ; 4-byte Folded Spill
	;; [unrolled: 1-line block ×3, first 2 shown]
	v_fma_f64 v[74:75], v[50:51], v[38:39], v[36:37]
	buffer_load_dword v36, off, s[56:59], 0 offset:664 ; 4-byte Folded Reload
	s_waitcnt vmcnt(0)
	v_lshlrev_b32_e32 v36, 4, v36
	v_add_co_u32_e32 v38, vcc, s4, v36
	v_addc_co_u32_e32 v39, vcc, 0, v148, vcc
	v_add_co_u32_e32 v36, vcc, s6, v38
	v_addc_co_u32_e32 v37, vcc, 0, v39, vcc
	v_add_co_u32_e32 v38, vcc, s5, v38
	v_addc_co_u32_e32 v39, vcc, 0, v39, vcc
	global_load_dwordx4 v[192:195], v[38:39], off offset:1696
	global_load_dwordx4 v[240:243], v[36:37], off offset:16
	s_waitcnt vmcnt(1) lgkmcnt(13)
	v_mul_f64 v[36:37], v[54:55], v[194:195]
	v_fma_f64 v[60:61], v[52:53], v[192:193], -v[36:37]
	v_mul_f64 v[36:37], v[52:53], v[194:195]
	v_fma_f64 v[62:63], v[54:55], v[192:193], v[36:37]
	s_waitcnt vmcnt(0) lgkmcnt(12)
	v_mul_f64 v[36:37], v[58:59], v[242:243]
	v_fma_f64 v[64:65], v[56:57], v[240:241], -v[36:37]
	v_mul_f64 v[36:37], v[56:57], v[242:243]
	v_fma_f64 v[66:67], v[58:59], v[240:241], v[36:37]
	buffer_load_dword v36, off, s[56:59], 0 offset:12 ; 4-byte Folded Reload
	s_waitcnt vmcnt(0)
	v_add_co_u32_e32 v38, vcc, s4, v36
	v_addc_co_u32_e32 v39, vcc, 0, v148, vcc
	v_add_co_u32_e32 v36, vcc, s6, v38
	v_addc_co_u32_e32 v37, vcc, 0, v39, vcc
	v_add_co_u32_e32 v38, vcc, s5, v38
	v_addc_co_u32_e32 v39, vcc, 0, v39, vcc
	global_load_dwordx4 v[204:207], v[38:39], off offset:1696
	global_load_dwordx4 v[200:203], v[36:37], off offset:16
	s_waitcnt vmcnt(1) lgkmcnt(10)
	v_mul_f64 v[36:37], v[210:211], v[206:207]
	v_fma_f64 v[52:53], v[208:209], v[204:205], -v[36:37]
	v_mul_f64 v[36:37], v[208:209], v[206:207]
	v_fma_f64 v[54:55], v[210:211], v[204:205], v[36:37]
	s_waitcnt vmcnt(0) lgkmcnt(9)
	v_mul_f64 v[36:37], v[214:215], v[202:203]
	v_fma_f64 v[56:57], v[212:213], v[200:201], -v[36:37]
	v_mul_f64 v[36:37], v[212:213], v[202:203]
	v_fma_f64 v[58:59], v[214:215], v[200:201], v[36:37]
	buffer_load_dword v36, off, s[56:59], 0 offset:16 ; 4-byte Folded Reload
	s_waitcnt vmcnt(0)
	;; [unrolled: 20-line block ×3, first 2 shown]
	v_add_co_u32_e32 v38, vcc, s4, v36
	v_addc_co_u32_e32 v39, vcc, 0, v148, vcc
	v_add_co_u32_e32 v36, vcc, s6, v38
	v_addc_co_u32_e32 v37, vcc, 0, v39, vcc
	;; [unrolled: 2-line block ×3, first 2 shown]
	global_load_dwordx4 v[220:223], v[38:39], off offset:1696
	global_load_dwordx4 v[216:219], v[36:37], off offset:16
	buffer_load_dword v149, off, s[56:59], 0 offset:24 ; 4-byte Folded Reload
	s_waitcnt vmcnt(2) lgkmcnt(4)
	v_mul_f64 v[36:37], v[226:227], v[222:223]
	s_waitcnt vmcnt(1) lgkmcnt(3)
	v_mul_f64 v[40:41], v[230:231], v[218:219]
	v_mul_f64 v[38:39], v[224:225], v[222:223]
	;; [unrolled: 1-line block ×3, first 2 shown]
	s_waitcnt vmcnt(0)
	v_add_co_u32_e32 v149, vcc, s4, v149
	v_addc_co_u32_e32 v148, vcc, 0, v148, vcc
	v_fma_f64 v[36:37], v[224:225], v[220:221], -v[36:37]
	v_fma_f64 v[40:41], v[228:229], v[216:217], -v[40:41]
	v_add_co_u32_e32 v228, vcc, s6, v149
	v_addc_co_u32_e32 v229, vcc, 0, v148, vcc
	v_add_co_u32_e32 v224, vcc, s5, v149
	v_addc_co_u32_e32 v225, vcc, 0, v148, vcc
	v_fma_f64 v[38:39], v[226:227], v[220:221], v[38:39]
	v_fma_f64 v[42:43], v[230:231], v[216:217], v[42:43]
	global_load_dwordx4 v[224:227], v[224:225], off offset:1696
	s_nop 0
	global_load_dwordx4 v[228:231], v[228:229], off offset:16
	s_mov_b32 s4, 0xe8584caa
	s_mov_b32 s5, 0x3febb67a
	;; [unrolled: 1-line block ×3, first 2 shown]
	s_waitcnt vmcnt(1) lgkmcnt(1)
	v_mul_f64 v[236:237], v[34:35], v[226:227]
	v_fma_f64 v[236:237], v[32:33], v[224:225], -v[236:237]
	v_mul_f64 v[32:33], v[32:33], v[226:227]
	v_fma_f64 v[244:245], v[34:35], v[224:225], v[32:33]
	s_waitcnt vmcnt(0) lgkmcnt(0)
	v_mul_f64 v[32:33], v[30:31], v[230:231]
	v_add_f64 v[34:35], v[78:79], v[234:235]
	v_fma_f64 v[238:239], v[28:29], v[228:229], -v[32:33]
	v_mul_f64 v[28:29], v[28:29], v[230:231]
	v_fma_f64 v[246:247], v[30:31], v[228:229], v[28:29]
	v_add_f64 v[30:31], v[76:77], v[232:233]
	v_add_f64 v[28:29], v[24:25], v[76:77]
	v_add_f64 v[76:77], v[76:77], -v[232:233]
	v_fma_f64 v[24:25], v[30:31], -0.5, v[24:25]
	v_add_f64 v[30:31], v[78:79], -v[234:235]
	v_add_f64 v[28:29], v[28:29], v[232:233]
	v_add_f64 v[232:233], v[70:71], -v[74:75]
	v_fma_f64 v[32:33], v[30:31], s[4:5], v[24:25]
	v_fma_f64 v[24:25], v[30:31], s[6:7], v[24:25]
	v_add_f64 v[30:31], v[26:27], v[78:79]
	v_add_f64 v[78:79], v[68:69], v[72:73]
	v_fma_f64 v[26:27], v[34:35], -0.5, v[26:27]
	v_add_f64 v[30:31], v[30:31], v[234:235]
	v_fma_f64 v[78:79], v[78:79], -0.5, v[20:21]
	v_fma_f64 v[34:35], v[76:77], s[6:7], v[26:27]
	v_fma_f64 v[26:27], v[76:77], s[4:5], v[26:27]
	v_add_f64 v[76:77], v[20:21], v[68:69]
	v_add_f64 v[68:69], v[68:69], -v[72:73]
	v_fma_f64 v[20:21], v[232:233], s[4:5], v[78:79]
	v_fma_f64 v[232:233], v[232:233], s[6:7], v[78:79]
	v_add_f64 v[78:79], v[22:23], v[70:71]
	v_add_f64 v[70:71], v[70:71], v[74:75]
	;; [unrolled: 1-line block ×3, first 2 shown]
	v_add_f64 v[72:73], v[62:63], -v[66:67]
	v_add_f64 v[78:79], v[78:79], v[74:75]
	v_fma_f64 v[70:71], v[70:71], -0.5, v[22:23]
	v_fma_f64 v[22:23], v[68:69], s[6:7], v[70:71]
	v_fma_f64 v[234:235], v[68:69], s[4:5], v[70:71]
	v_add_f64 v[70:71], v[60:61], v[64:65]
	v_add_f64 v[68:69], v[16:17], v[60:61]
	v_add_f64 v[60:61], v[60:61], -v[64:65]
	v_fma_f64 v[70:71], v[70:71], -0.5, v[16:17]
	v_add_f64 v[68:69], v[68:69], v[64:65]
	v_add_f64 v[64:65], v[54:55], -v[58:59]
	v_fma_f64 v[16:17], v[72:73], s[4:5], v[70:71]
	v_fma_f64 v[72:73], v[72:73], s[6:7], v[70:71]
	v_add_f64 v[70:71], v[18:19], v[62:63]
	v_add_f64 v[62:63], v[62:63], v[66:67]
	v_add_f64 v[70:71], v[70:71], v[66:67]
	v_fma_f64 v[62:63], v[62:63], -0.5, v[18:19]
	v_fma_f64 v[18:19], v[60:61], s[6:7], v[62:63]
	v_fma_f64 v[74:75], v[60:61], s[4:5], v[62:63]
	v_add_f64 v[62:63], v[52:53], v[56:57]
	v_add_f64 v[60:61], v[12:13], v[52:53]
	v_add_f64 v[52:53], v[52:53], -v[56:57]
	v_fma_f64 v[62:63], v[62:63], -0.5, v[12:13]
	v_add_f64 v[60:61], v[60:61], v[56:57]
	v_add_f64 v[56:57], v[46:47], -v[50:51]
	v_fma_f64 v[12:13], v[64:65], s[4:5], v[62:63]
	v_fma_f64 v[64:65], v[64:65], s[6:7], v[62:63]
	v_add_f64 v[62:63], v[14:15], v[54:55]
	v_add_f64 v[54:55], v[54:55], v[58:59]
	;; [unrolled: 14-line block ×3, first 2 shown]
	v_add_f64 v[54:55], v[54:55], v[50:51]
	v_fma_f64 v[46:47], v[46:47], -0.5, v[10:11]
	v_fma_f64 v[10:11], v[44:45], s[6:7], v[46:47]
	v_fma_f64 v[58:59], v[44:45], s[4:5], v[46:47]
	v_add_f64 v[46:47], v[36:37], v[40:41]
	v_add_f64 v[44:45], v[4:5], v[36:37]
	v_add_f64 v[36:37], v[36:37], -v[40:41]
	v_fma_f64 v[46:47], v[46:47], -0.5, v[4:5]
	v_add_f64 v[44:45], v[44:45], v[40:41]
	v_fma_f64 v[4:5], v[48:49], s[4:5], v[46:47]
	v_fma_f64 v[48:49], v[48:49], s[6:7], v[46:47]
	v_add_f64 v[46:47], v[6:7], v[38:39]
	v_add_f64 v[38:39], v[38:39], v[42:43]
	;; [unrolled: 1-line block ×3, first 2 shown]
	v_fma_f64 v[38:39], v[38:39], -0.5, v[6:7]
	v_add_f64 v[42:43], v[244:245], v[246:247]
	v_fma_f64 v[6:7], v[36:37], s[6:7], v[38:39]
	v_fma_f64 v[50:51], v[36:37], s[4:5], v[38:39]
	v_add_f64 v[38:39], v[236:237], v[238:239]
	v_add_f64 v[36:37], v[0:1], v[236:237]
	v_add_f64 v[236:237], v[236:237], -v[238:239]
	v_fma_f64 v[0:1], v[38:39], -0.5, v[0:1]
	v_add_f64 v[38:39], v[244:245], -v[246:247]
	v_add_f64 v[36:37], v[36:37], v[238:239]
	v_fma_f64 v[40:41], v[38:39], s[4:5], v[0:1]
	v_fma_f64 v[0:1], v[38:39], s[6:7], v[0:1]
	v_add_f64 v[38:39], v[2:3], v[244:245]
	v_fma_f64 v[2:3], v[42:43], -0.5, v[2:3]
	v_add_f64 v[38:39], v[38:39], v[246:247]
	v_fma_f64 v[42:43], v[236:237], s[6:7], v[2:3]
	v_fma_f64 v[2:3], v[236:237], s[4:5], v[2:3]
	ds_write_b128 v196, v[28:31]
	ds_write_b128 v196, v[32:35] offset:5824
	ds_write_b128 v196, v[24:27] offset:11648
	;; [unrolled: 1-line block ×20, first 2 shown]
	s_waitcnt lgkmcnt(0)
	; wave barrier
	s_waitcnt lgkmcnt(0)
	buffer_load_dword v24, off, s[56:59], 0 offset:4 ; 4-byte Folded Reload
	s_movk_i32 s4, 0x4440
	s_movk_i32 s6, 0x4000
	ds_read_b128 v[6:9], v196
	s_waitcnt vmcnt(0)
	v_add_co_u32_e32 v4, vcc, s4, v24
	v_addc_co_u32_e32 v5, vcc, 0, v199, vcc
	v_add_co_u32_e32 v10, vcc, s6, v24
	v_addc_co_u32_e32 v11, vcc, 0, v199, vcc
	global_load_dwordx4 v[10:13], v[10:11], off offset:1088
	s_movk_i32 s4, 0x6000
	s_waitcnt vmcnt(0) lgkmcnt(0)
	v_mul_f64 v[14:15], v[8:9], v[12:13]
	v_fma_f64 v[14:15], v[6:7], v[10:11], -v[14:15]
	v_mul_f64 v[6:7], v[6:7], v[12:13]
	v_fma_f64 v[16:17], v[8:9], v[10:11], v[6:7]
	v_add_co_u32_e32 v6, vcc, s4, v24
	v_addc_co_u32_e32 v7, vcc, 0, v199, vcc
	ds_read_b128 v[8:11], v196 offset:8736
	s_movk_i32 s4, 0x7000
	v_add_co_u32_e32 v20, vcc, s4, v24
	ds_write_b128 v196, v[14:17]
	global_load_dwordx4 v[12:15], v[6:7], off offset:1632
	v_addc_co_u32_e32 v21, vcc, 0, v199, vcc
	s_movk_i32 s4, 0x5000
	v_add_co_u32_e32 v22, vcc, s4, v24
	v_addc_co_u32_e32 v23, vcc, 0, v199, vcc
	s_mov_b32 s4, 0x8000
	s_waitcnt vmcnt(0) lgkmcnt(1)
	v_mul_f64 v[16:17], v[10:11], v[14:15]
	v_fma_f64 v[16:17], v[8:9], v[12:13], -v[16:17]
	v_mul_f64 v[8:9], v[8:9], v[14:15]
	v_fma_f64 v[18:19], v[10:11], v[12:13], v[8:9]
	global_load_dwordx4 v[12:15], v[4:5], off offset:832
	ds_read_b128 v[8:11], v196 offset:832
	ds_write_b128 v196, v[16:19] offset:8736
	s_waitcnt vmcnt(0) lgkmcnt(1)
	v_mul_f64 v[16:17], v[10:11], v[14:15]
	v_fma_f64 v[16:17], v[8:9], v[12:13], -v[16:17]
	v_mul_f64 v[8:9], v[8:9], v[14:15]
	v_fma_f64 v[18:19], v[10:11], v[12:13], v[8:9]
	global_load_dwordx4 v[12:15], v[6:7], off offset:2464
	ds_read_b128 v[8:11], v196 offset:9568
	ds_write_b128 v196, v[16:19] offset:832
	;; [unrolled: 8-line block ×13, first 2 shown]
	s_waitcnt vmcnt(0) lgkmcnt(1)
	v_mul_f64 v[16:17], v[10:11], v[14:15]
	v_fma_f64 v[16:17], v[8:9], v[12:13], -v[16:17]
	v_mul_f64 v[8:9], v[8:9], v[14:15]
	v_fma_f64 v[18:19], v[10:11], v[12:13], v[8:9]
	global_load_dwordx4 v[12:15], v[20:21], off offset:3360
	ds_read_b128 v[8:11], v196 offset:14560
	v_add_co_u32_e32 v20, vcc, s4, v24
	v_addc_co_u32_e32 v21, vcc, 0, v199, vcc
	ds_write_b128 v196, v[16:19] offset:5824
	s_waitcnt vmcnt(0) lgkmcnt(1)
	v_mul_f64 v[16:17], v[10:11], v[14:15]
	v_fma_f64 v[16:17], v[8:9], v[12:13], -v[16:17]
	v_mul_f64 v[8:9], v[8:9], v[14:15]
	v_fma_f64 v[18:19], v[10:11], v[12:13], v[8:9]
	global_load_dwordx4 v[12:15], v[22:23], off offset:3648
	ds_read_b128 v[8:11], v196 offset:6656
	ds_write_b128 v196, v[16:19] offset:14560
	s_waitcnt vmcnt(0) lgkmcnt(1)
	v_mul_f64 v[16:17], v[10:11], v[14:15]
	v_fma_f64 v[16:17], v[8:9], v[12:13], -v[16:17]
	v_mul_f64 v[8:9], v[8:9], v[14:15]
	v_fma_f64 v[18:19], v[10:11], v[12:13], v[8:9]
	global_load_dwordx4 v[12:15], v[20:21], off offset:96
	ds_read_b128 v[8:11], v196 offset:15392
	;; [unrolled: 8-line block ×3, first 2 shown]
	ds_write_b128 v196, v[16:19] offset:15392
	s_waitcnt vmcnt(0) lgkmcnt(1)
	v_mul_f64 v[6:7], v[10:11], v[14:15]
	v_fma_f64 v[6:7], v[8:9], v[12:13], -v[6:7]
	v_mul_f64 v[8:9], v[8:9], v[14:15]
	v_fma_f64 v[8:9], v[10:11], v[12:13], v[8:9]
	global_load_dwordx4 v[10:13], v[20:21], off offset:928
	ds_write_b128 v196, v[6:9] offset:7488
	ds_read_b128 v[6:9], v196 offset:16224
	s_waitcnt vmcnt(0) lgkmcnt(0)
	v_mul_f64 v[14:15], v[8:9], v[12:13]
	v_fma_f64 v[14:15], v[6:7], v[10:11], -v[14:15]
	v_mul_f64 v[6:7], v[6:7], v[12:13]
	v_fma_f64 v[16:17], v[8:9], v[10:11], v[6:7]
	ds_write_b128 v196, v[14:17] offset:16224
	s_and_saveexec_b64 s[4:5], s[0:1]
	s_cbranch_execz .LBB0_17
; %bb.16:
	v_add_co_u32_e32 v10, vcc, 0x2000, v4
	v_addc_co_u32_e32 v11, vcc, 0, v5, vcc
	global_load_dwordx4 v[10:13], v[10:11], off offset:128
	ds_read_b128 v[6:9], v196 offset:8320
	v_add_co_u32_e32 v4, vcc, s6, v4
	v_addc_co_u32_e32 v5, vcc, 0, v5, vcc
	s_waitcnt vmcnt(0) lgkmcnt(0)
	v_mul_f64 v[14:15], v[8:9], v[12:13]
	v_fma_f64 v[14:15], v[6:7], v[10:11], -v[14:15]
	v_mul_f64 v[6:7], v[6:7], v[12:13]
	v_fma_f64 v[16:17], v[8:9], v[10:11], v[6:7]
	global_load_dwordx4 v[10:13], v[4:5], off offset:672
	ds_read_b128 v[6:9], v196 offset:17056
	ds_write_b128 v196, v[14:17] offset:8320
	s_waitcnt vmcnt(0) lgkmcnt(1)
	v_mul_f64 v[4:5], v[8:9], v[12:13]
	v_fma_f64 v[4:5], v[6:7], v[10:11], -v[4:5]
	v_mul_f64 v[6:7], v[6:7], v[12:13]
	v_fma_f64 v[6:7], v[8:9], v[10:11], v[6:7]
	ds_write_b128 v196, v[4:7] offset:17056
.LBB0_17:
	s_or_b64 exec, exec, s[4:5]
	s_waitcnt lgkmcnt(0)
	; wave barrier
	s_waitcnt lgkmcnt(0)
	ds_read_b128 v[64:67], v196
	ds_read_b128 v[68:71], v196 offset:832
	ds_read_b128 v[232:235], v196 offset:8736
	;; [unrolled: 1-line block ×19, first 2 shown]
	s_mov_b64 s[4:5], exec
	buffer_load_dword v80, off, s[56:59], 0 offset:668 ; 4-byte Folded Reload
	buffer_load_dword v81, off, s[56:59], 0 offset:672 ; 4-byte Folded Reload
	;; [unrolled: 1-line block ×16, first 2 shown]
	s_and_b64 s[6:7], s[4:5], s[0:1]
	s_mov_b64 exec, s[6:7]
	s_cbranch_execz .LBB0_19
; %bb.18:
	ds_read_b128 v[0:3], v196 offset:8320
	ds_read_b128 v[164:167], v196 offset:17056
.LBB0_19:
	s_or_b64 exec, exec, s[4:5]
	s_waitcnt lgkmcnt(0)
	v_add_f64 v[244:245], v[16:17], -v[8:9]
	v_add_f64 v[8:9], v[0:1], -v[164:165]
	;; [unrolled: 1-line block ×3, first 2 shown]
	s_waitcnt lgkmcnt(0)
	; wave barrier
	v_add_f64 v[232:233], v[64:65], -v[232:233]
	v_add_f64 v[234:235], v[66:67], -v[234:235]
	;; [unrolled: 1-line block ×4, first 2 shown]
	v_fma_f64 v[24:25], v[0:1], 2.0, -v[8:9]
	buffer_load_dword v0, off, s[56:59], 0 offset:616 ; 4-byte Folded Reload
	v_add_f64 v[72:73], v[60:61], -v[72:73]
	v_add_f64 v[74:75], v[62:63], -v[74:75]
	v_fma_f64 v[64:65], v[64:65], 2.0, -v[232:233]
	v_fma_f64 v[66:67], v[66:67], 2.0, -v[234:235]
	;; [unrolled: 1-line block ×4, first 2 shown]
	v_add_f64 v[56:57], v[32:33], -v[56:57]
	v_add_f64 v[58:59], v[34:35], -v[58:59]
	v_fma_f64 v[60:61], v[60:61], 2.0, -v[72:73]
	v_fma_f64 v[62:63], v[62:63], 2.0, -v[74:75]
	v_add_f64 v[52:53], v[36:37], -v[52:53]
	v_add_f64 v[54:55], v[38:39], -v[54:55]
	;; [unrolled: 1-line block ×4, first 2 shown]
	v_fma_f64 v[32:33], v[32:33], 2.0, -v[56:57]
	v_fma_f64 v[34:35], v[34:35], 2.0, -v[58:59]
	v_add_f64 v[44:45], v[28:29], -v[44:45]
	v_add_f64 v[46:47], v[30:31], -v[46:47]
	v_fma_f64 v[36:37], v[36:37], 2.0, -v[52:53]
	v_fma_f64 v[38:39], v[38:39], 2.0, -v[54:55]
	;; [unrolled: 1-line block ×4, first 2 shown]
	v_add_f64 v[238:239], v[6:7], -v[26:27]
	v_fma_f64 v[4:5], v[4:5], 2.0, -v[236:237]
	v_fma_f64 v[28:29], v[28:29], 2.0, -v[44:45]
	;; [unrolled: 1-line block ×3, first 2 shown]
	v_add_f64 v[20:21], v[12:13], -v[20:21]
	v_add_f64 v[22:23], v[14:15], -v[22:23]
	;; [unrolled: 1-line block ×4, first 2 shown]
	v_fma_f64 v[6:7], v[6:7], 2.0, -v[238:239]
	v_fma_f64 v[16:17], v[16:17], 2.0, -v[244:245]
	s_waitcnt vmcnt(0)
	ds_write_b128 v0, v[64:67]
	ds_write_b128 v0, v[232:235] offset:16
	buffer_load_dword v0, off, s[56:59], 0 offset:620 ; 4-byte Folded Reload
	v_fma_f64 v[12:13], v[12:13], 2.0, -v[20:21]
	v_fma_f64 v[14:15], v[14:15], 2.0, -v[22:23]
	;; [unrolled: 1-line block ×4, first 2 shown]
	s_waitcnt vmcnt(0)
	ds_write_b128 v0, v[68:71]
	ds_write_b128 v0, v[76:79] offset:16
	buffer_load_dword v0, off, s[56:59], 0 offset:624 ; 4-byte Folded Reload
	s_waitcnt vmcnt(0)
	ds_write_b128 v0, v[60:63]
	ds_write_b128 v0, v[72:75] offset:16
	buffer_load_dword v0, off, s[56:59], 0 offset:12 ; 4-byte Folded Reload
	;; [unrolled: 4-line block ×8, first 2 shown]
	s_waitcnt vmcnt(0)
	ds_write_b128 v0, v[16:19]
	ds_write_b128 v0, v[244:247] offset:16
	s_and_saveexec_b64 s[4:5], s[0:1]
	s_cbranch_execz .LBB0_21
; %bb.20:
	buffer_load_dword v0, off, s[56:59], 0 offset:736 ; 4-byte Folded Reload
	s_waitcnt vmcnt(0)
	ds_write_b128 v0, v[24:27]
	ds_write_b128 v0, v[8:11] offset:16
.LBB0_21:
	s_or_b64 exec, exec, s[4:5]
	s_waitcnt lgkmcnt(0)
	; wave barrier
	s_waitcnt lgkmcnt(0)
	ds_read_b128 v[44:47], v196
	ds_read_b128 v[40:43], v196 offset:832
	ds_read_b128 v[232:235], v196 offset:8736
	;; [unrolled: 1-line block ×19, first 2 shown]
	s_and_saveexec_b64 s[4:5], s[0:1]
	s_cbranch_execz .LBB0_23
; %bb.22:
	ds_read_b128 v[24:27], v196 offset:8320
	ds_read_b128 v[8:11], v196 offset:17056
.LBB0_23:
	s_or_b64 exec, exec, s[4:5]
	s_waitcnt lgkmcnt(13)
	v_mul_f64 v[244:245], v[250:251], v[78:79]
	v_mul_f64 v[236:237], v[250:251], v[234:235]
	;; [unrolled: 1-line block ×3, first 2 shown]
	s_waitcnt lgkmcnt(0)
	; wave barrier
	s_waitcnt lgkmcnt(0)
	v_fma_f64 v[244:245], v[248:249], v[76:77], v[244:245]
	v_mul_f64 v[76:77], v[250:251], v[76:77]
	v_fma_f64 v[236:237], v[248:249], v[232:233], v[236:237]
	v_mul_f64 v[232:233], v[250:251], v[232:233]
	v_fma_f64 v[238:239], v[248:249], v[254:255], -v[238:239]
	v_fma_f64 v[76:77], v[248:249], v[78:79], -v[76:77]
	v_mul_f64 v[78:79], v[250:251], v[74:75]
	v_fma_f64 v[232:233], v[248:249], v[234:235], -v[232:233]
	v_mul_f64 v[234:235], v[250:251], v[254:255]
	v_fma_f64 v[78:79], v[248:249], v[72:73], v[78:79]
	v_mul_f64 v[72:73], v[250:251], v[72:73]
	v_fma_f64 v[234:235], v[248:249], v[252:253], v[234:235]
	v_fma_f64 v[72:73], v[248:249], v[74:75], -v[72:73]
	v_mul_f64 v[74:75], v[250:251], v[70:71]
	v_fma_f64 v[74:75], v[248:249], v[68:69], v[74:75]
	v_mul_f64 v[68:69], v[250:251], v[68:69]
	v_fma_f64 v[68:69], v[248:249], v[70:71], -v[68:69]
	v_mul_f64 v[70:71], v[250:251], v[66:67]
	v_fma_f64 v[70:71], v[248:249], v[64:65], v[70:71]
	v_mul_f64 v[64:65], v[250:251], v[64:65]
	v_fma_f64 v[246:247], v[248:249], v[66:67], -v[64:65]
	v_mul_f64 v[64:65], v[250:251], v[62:63]
	v_add_f64 v[66:67], v[30:31], -v[68:69]
	v_add_f64 v[68:69], v[20:21], -v[70:71]
	;; [unrolled: 1-line block ×3, first 2 shown]
	v_fma_f64 v[252:253], v[248:249], v[60:61], v[64:65]
	v_mul_f64 v[60:61], v[250:251], v[60:61]
	v_add_f64 v[64:65], v[28:29], -v[74:75]
	v_fma_f64 v[30:31], v[30:31], 2.0, -v[66:67]
	v_fma_f64 v[74:75], v[22:23], 2.0, -v[70:71]
	v_fma_f64 v[254:255], v[248:249], v[62:63], -v[60:61]
	v_mul_f64 v[60:61], v[250:251], v[58:59]
	v_add_f64 v[62:63], v[34:35], -v[72:73]
	v_fma_f64 v[28:29], v[28:29], 2.0, -v[64:65]
	v_fma_f64 v[72:73], v[20:21], 2.0, -v[68:69]
	v_fma_f64 v[198:199], v[248:249], v[56:57], v[60:61]
	v_mul_f64 v[56:57], v[250:251], v[56:57]
	v_add_f64 v[60:61], v[32:33], -v[78:79]
	v_fma_f64 v[34:35], v[34:35], 2.0, -v[62:63]
	v_fma_f64 v[148:149], v[248:249], v[58:59], -v[56:57]
	v_mul_f64 v[56:57], v[250:251], v[54:55]
	v_add_f64 v[58:59], v[38:39], -v[76:77]
	v_fma_f64 v[32:33], v[32:33], 2.0, -v[60:61]
	v_fma_f64 v[150:151], v[248:249], v[52:53], v[56:57]
	v_mul_f64 v[52:53], v[250:251], v[52:53]
	v_add_f64 v[56:57], v[36:37], -v[244:245]
	v_fma_f64 v[38:39], v[38:39], 2.0, -v[58:59]
	v_fma_f64 v[156:157], v[248:249], v[54:55], -v[52:53]
	v_mul_f64 v[52:53], v[250:251], v[50:51]
	v_add_f64 v[54:55], v[42:43], -v[238:239]
	v_fma_f64 v[36:37], v[36:37], 2.0, -v[56:57]
	v_fma_f64 v[158:159], v[248:249], v[48:49], v[52:53]
	v_mul_f64 v[48:49], v[250:251], v[48:49]
	v_add_f64 v[52:53], v[40:41], -v[234:235]
	v_fma_f64 v[42:43], v[42:43], 2.0, -v[54:55]
	v_add_f64 v[20:21], v[12:13], -v[158:159]
	v_fma_f64 v[160:161], v[248:249], v[50:51], -v[48:49]
	v_mul_f64 v[48:49], v[250:251], v[10:11]
	v_add_f64 v[50:51], v[46:47], -v[232:233]
	v_fma_f64 v[40:41], v[40:41], 2.0, -v[52:53]
	v_fma_f64 v[12:13], v[12:13], 2.0, -v[20:21]
	v_add_f64 v[22:23], v[14:15], -v[160:161]
	v_fma_f64 v[162:163], v[248:249], v[8:9], v[48:49]
	v_mul_f64 v[8:9], v[250:251], v[8:9]
	v_add_f64 v[250:251], v[2:3], -v[254:255]
	v_add_f64 v[48:49], v[44:45], -v[236:237]
	v_fma_f64 v[46:47], v[46:47], 2.0, -v[50:51]
	v_fma_f64 v[14:15], v[14:15], 2.0, -v[22:23]
	v_fma_f64 v[164:165], v[248:249], v[10:11], -v[8:9]
	v_fma_f64 v[78:79], v[2:3], 2.0, -v[250:251]
	v_add_f64 v[2:3], v[18:19], -v[148:149]
	buffer_load_dword v148, off, s[56:59], 0 offset:612 ; 4-byte Folded Reload
	v_fma_f64 v[44:45], v[44:45], 2.0, -v[48:49]
	v_add_f64 v[248:249], v[0:1], -v[252:253]
	v_add_f64 v[8:9], v[4:5], -v[150:151]
	;; [unrolled: 1-line block ×3, first 2 shown]
	s_waitcnt vmcnt(0)
	ds_write_b128 v148, v[44:47]
	ds_write_b128 v148, v[48:51] offset:32
	buffer_load_dword v44, off, s[56:59], 0 offset:608 ; 4-byte Folded Reload
	v_fma_f64 v[76:77], v[0:1], 2.0, -v[248:249]
	v_add_f64 v[0:1], v[16:17], -v[198:199]
	v_fma_f64 v[254:255], v[18:19], 2.0, -v[2:3]
	v_fma_f64 v[4:5], v[4:5], 2.0, -v[8:9]
	;; [unrolled: 1-line block ×3, first 2 shown]
	v_add_f64 v[18:19], v[26:27], -v[164:165]
	s_waitcnt vmcnt(0)
	ds_write_b128 v44, v[40:43]
	ds_write_b128 v44, v[52:55] offset:32
	buffer_load_dword v40, off, s[56:59], 0 offset:604 ; 4-byte Folded Reload
	v_fma_f64 v[252:253], v[16:17], 2.0, -v[0:1]
	v_add_f64 v[16:17], v[24:25], -v[162:163]
	v_fma_f64 v[26:27], v[26:27], 2.0, -v[18:19]
	s_waitcnt vmcnt(0)
	ds_write_b128 v40, v[36:39]
	ds_write_b128 v40, v[56:59] offset:32
	buffer_load_dword v36, off, s[56:59], 0 offset:600 ; 4-byte Folded Reload
	v_fma_f64 v[24:25], v[24:25], 2.0, -v[16:17]
	s_waitcnt vmcnt(0)
	ds_write_b128 v36, v[32:35]
	ds_write_b128 v36, v[60:63] offset:32
	buffer_load_dword v32, off, s[56:59], 0 offset:596 ; 4-byte Folded Reload
	s_waitcnt vmcnt(0)
	ds_write_b128 v32, v[28:31]
	ds_write_b128 v32, v[64:67] offset:32
	buffer_load_dword v28, off, s[56:59], 0 offset:628 ; 4-byte Folded Reload
	;; [unrolled: 4-line block ×6, first 2 shown]
	s_waitcnt vmcnt(0)
	ds_write_b128 v28, v[12:15]
	ds_write_b128 v28, v[20:23] offset:32
	s_and_saveexec_b64 s[4:5], s[0:1]
	s_cbranch_execz .LBB0_25
; %bb.24:
	buffer_load_dword v28, off, s[56:59], 0 offset:732 ; 4-byte Folded Reload
	buffer_load_dword v29, off, s[56:59], 0 offset:660 ; 4-byte Folded Reload
	s_movk_i32 s6, 0x47c
	s_waitcnt vmcnt(0)
	v_and_or_b32 v28, v29, s6, v28
	v_lshlrev_b32_e32 v28, 4, v28
	ds_write_b128 v28, v[24:27]
	ds_write_b128 v28, v[16:19] offset:32
.LBB0_25:
	s_or_b64 exec, exec, s[4:5]
	s_waitcnt lgkmcnt(0)
	; wave barrier
	s_waitcnt lgkmcnt(0)
	ds_read_b128 v[32:35], v196
	ds_read_b128 v[76:79], v196 offset:1344
	ds_read_b128 v[72:75], v196 offset:2688
	;; [unrolled: 1-line block ×12, first 2 shown]
	s_and_saveexec_b64 s[4:5], s[2:3]
	s_cbranch_execz .LBB0_27
; %bb.26:
	ds_read_b128 v[248:251], v196 offset:832
	ds_read_b128 v[252:255], v196 offset:2176
	;; [unrolled: 1-line block ×10, first 2 shown]
	s_waitcnt lgkmcnt(0)
	buffer_store_dword v148, off, s[56:59], 0 offset:76 ; 4-byte Folded Spill
	s_nop 0
	buffer_store_dword v149, off, s[56:59], 0 offset:80 ; 4-byte Folded Spill
	buffer_store_dword v150, off, s[56:59], 0 offset:84 ; 4-byte Folded Spill
	buffer_store_dword v151, off, s[56:59], 0 offset:88 ; 4-byte Folded Spill
	ds_read_b128 v[148:151], v196 offset:14272
	s_waitcnt lgkmcnt(0)
	buffer_store_dword v148, off, s[56:59], 0 offset:60 ; 4-byte Folded Spill
	s_nop 0
	buffer_store_dword v149, off, s[56:59], 0 offset:64 ; 4-byte Folded Spill
	buffer_store_dword v150, off, s[56:59], 0 offset:68 ; 4-byte Folded Spill
	buffer_store_dword v151, off, s[56:59], 0 offset:72 ; 4-byte Folded Spill
	ds_read_b128 v[148:151], v196 offset:15616
	s_waitcnt lgkmcnt(0)
	buffer_store_dword v148, off, s[56:59], 0 offset:44 ; 4-byte Folded Spill
	s_nop 0
	buffer_store_dword v149, off, s[56:59], 0 offset:48 ; 4-byte Folded Spill
	buffer_store_dword v150, off, s[56:59], 0 offset:52 ; 4-byte Folded Spill
	buffer_store_dword v151, off, s[56:59], 0 offset:56 ; 4-byte Folded Spill
	ds_read_b128 v[148:151], v196 offset:16960
	s_waitcnt lgkmcnt(0)
	buffer_store_dword v148, off, s[56:59], 0 offset:28 ; 4-byte Folded Spill
	s_nop 0
	buffer_store_dword v149, off, s[56:59], 0 offset:32 ; 4-byte Folded Spill
	buffer_store_dword v150, off, s[56:59], 0 offset:36 ; 4-byte Folded Spill
	;; [unrolled: 1-line block ×3, first 2 shown]
.LBB0_27:
	s_or_b64 exec, exec, s[4:5]
	buffer_load_dword v96, off, s[56:59], 0 offset:92 ; 4-byte Folded Reload
	buffer_load_dword v97, off, s[56:59], 0 offset:96 ; 4-byte Folded Reload
	;; [unrolled: 1-line block ×4, first 2 shown]
	s_waitcnt lgkmcnt(11)
	v_mul_f64 v[148:149], v[82:83], v[78:79]
	s_mov_b32 s24, 0x2ef20147
	s_mov_b32 s25, 0xbfedeba7
	;; [unrolled: 1-line block ×7, first 2 shown]
	v_fma_f64 v[148:149], v[80:81], v[76:77], v[148:149]
	v_mul_f64 v[76:77], v[82:83], v[76:77]
	s_mov_b32 s36, 0x4bc48dbf
	s_mov_b32 s7, 0xbfddbe06
	;; [unrolled: 1-line block ×7, first 2 shown]
	v_fma_f64 v[78:79], v[80:81], v[78:79], -v[76:77]
	s_waitcnt lgkmcnt(10)
	v_mul_f64 v[76:77], v[86:87], v[74:75]
	s_mov_b32 s4, 0xe00740e9
	s_mov_b32 s14, 0x1ea71119
	;; [unrolled: 1-line block ×7, first 2 shown]
	v_fma_f64 v[76:77], v[84:85], v[72:73], v[76:77]
	v_mul_f64 v[72:73], v[86:87], v[72:73]
	s_mov_b32 s27, 0xbfe7f3cc
	s_mov_b32 s31, 0x3fddbe06
	s_mov_b32 s30, s6
	s_mov_b32 s45, 0x3fea55e2
	s_mov_b32 s44, s16
	s_mov_b32 s39, 0x3fefc445
	s_mov_b32 s38, s18
	v_fma_f64 v[74:75], v[84:85], v[74:75], -v[72:73]
	s_waitcnt lgkmcnt(9)
	v_mul_f64 v[72:73], v[94:95], v[70:71]
	s_mov_b32 s43, 0x3fedeba7
	s_mov_b32 s42, s24
	;; [unrolled: 1-line block ×6, first 2 shown]
	s_waitcnt lgkmcnt(0)
	v_fma_f64 v[72:73], v[92:93], v[68:69], v[72:73]
	v_mul_f64 v[68:69], v[94:95], v[68:69]
	; wave barrier
	v_fma_f64 v[70:71], v[92:93], v[70:71], -v[68:69]
	s_waitcnt vmcnt(0)
	v_mul_f64 v[68:69], v[98:99], v[66:67]
	v_fma_f64 v[68:69], v[96:97], v[64:65], v[68:69]
	v_mul_f64 v[64:65], v[98:99], v[64:65]
	v_fma_f64 v[66:67], v[96:97], v[66:67], -v[64:65]
	v_mul_f64 v[64:65], v[110:111], v[62:63]
	v_fma_f64 v[64:65], v[108:109], v[60:61], v[64:65]
	v_mul_f64 v[60:61], v[110:111], v[60:61]
	v_fma_f64 v[62:63], v[108:109], v[62:63], -v[60:61]
	v_mul_f64 v[60:61], v[126:127], v[58:59]
	v_fma_f64 v[60:61], v[124:125], v[56:57], v[60:61]
	v_mul_f64 v[56:57], v[126:127], v[56:57]
	v_fma_f64 v[56:57], v[124:125], v[58:59], -v[56:57]
	v_mul_f64 v[58:59], v[122:123], v[54:55]
	v_fma_f64 v[58:59], v[120:121], v[52:53], v[58:59]
	v_mul_f64 v[52:53], v[122:123], v[52:53]
	v_fma_f64 v[52:53], v[120:121], v[54:55], -v[52:53]
	v_mul_f64 v[54:55], v[114:115], v[50:51]
	v_fma_f64 v[54:55], v[112:113], v[48:49], v[54:55]
	v_mul_f64 v[48:49], v[114:115], v[48:49]
	v_fma_f64 v[48:49], v[112:113], v[50:51], -v[48:49]
	v_mul_f64 v[50:51], v[118:119], v[46:47]
	v_fma_f64 v[50:51], v[116:117], v[44:45], v[50:51]
	v_mul_f64 v[44:45], v[118:119], v[44:45]
	v_fma_f64 v[44:45], v[116:117], v[46:47], -v[44:45]
	v_mul_f64 v[46:47], v[106:107], v[42:43]
	v_fma_f64 v[46:47], v[104:105], v[40:41], v[46:47]
	v_mul_f64 v[40:41], v[106:107], v[40:41]
	v_fma_f64 v[40:41], v[104:105], v[42:43], -v[40:41]
	v_mul_f64 v[42:43], v[102:103], v[38:39]
	v_fma_f64 v[42:43], v[100:101], v[36:37], v[42:43]
	v_mul_f64 v[36:37], v[102:103], v[36:37]
	v_fma_f64 v[36:37], v[100:101], v[38:39], -v[36:37]
	v_mul_f64 v[38:39], v[90:91], v[30:31]
	v_fma_f64 v[38:39], v[88:89], v[28:29], v[38:39]
	v_mul_f64 v[28:29], v[90:91], v[28:29]
	v_add_f64 v[156:157], v[148:149], v[38:39]
	v_fma_f64 v[150:151], v[88:89], v[30:31], -v[28:29]
	v_add_f64 v[28:29], v[32:33], v[148:149]
	v_add_f64 v[30:31], v[34:35], v[78:79]
	;; [unrolled: 1-line block ×5, first 2 shown]
	v_add_f64 v[78:79], v[78:79], -v[150:151]
	v_mul_f64 v[160:161], v[158:159], s[4:5]
	v_add_f64 v[28:29], v[28:29], v[72:73]
	v_add_f64 v[30:31], v[30:31], v[70:71]
	v_mul_f64 v[246:247], v[78:79], s[24:25]
	v_mul_f64 v[164:165], v[78:79], s[16:17]
	;; [unrolled: 1-line block ×6, first 2 shown]
	v_add_f64 v[28:29], v[28:29], v[68:69]
	v_add_f64 v[30:31], v[30:31], v[66:67]
	v_fma_f64 v[168:169], v[156:157], s[22:23], v[246:247]
	v_fma_f64 v[174:175], v[156:157], s[22:23], -v[246:247]
	v_mul_f64 v[246:247], v[78:79], s[28:29]
	v_fma_f64 v[166:167], v[156:157], s[14:15], v[164:165]
	v_fma_f64 v[164:165], v[156:157], s[14:15], -v[164:165]
	v_fma_f64 v[236:237], v[156:157], s[20:21], v[234:235]
	v_add_f64 v[28:29], v[28:29], v[64:65]
	v_add_f64 v[30:31], v[30:31], v[62:63]
	v_fma_f64 v[234:235], v[156:157], s[20:21], -v[234:235]
	v_mul_f64 v[178:179], v[158:159], s[26:27]
	v_fma_f64 v[176:177], v[156:157], s[26:27], v[246:247]
	v_fma_f64 v[182:183], v[156:157], s[26:27], -v[246:247]
	v_mul_f64 v[158:159], v[158:159], s[34:35]
	v_add_f64 v[166:167], v[32:33], v[166:167]
	v_add_f64 v[28:29], v[28:29], v[60:61]
	;; [unrolled: 1-line block ×21, first 2 shown]
	v_add_f64 v[38:39], v[148:149], -v[38:39]
	v_mul_f64 v[148:149], v[78:79], s[6:7]
	v_mul_f64 v[78:79], v[78:79], s[36:37]
	v_add_f64 v[30:31], v[30:31], v[150:151]
	v_fma_f64 v[162:163], v[38:39], s[30:31], v[160:161]
	v_fma_f64 v[150:151], v[156:157], s[4:5], v[148:149]
	v_fma_f64 v[148:149], v[156:157], s[4:5], -v[148:149]
	v_fma_f64 v[246:247], v[156:157], s[34:35], v[78:79]
	v_fma_f64 v[78:79], v[156:157], s[34:35], -v[78:79]
	v_fma_f64 v[160:161], v[38:39], s[6:7], v[160:161]
	v_fma_f64 v[232:233], v[38:39], s[44:45], v[198:199]
	;; [unrolled: 1-line block ×4, first 2 shown]
	v_add_f64 v[150:151], v[32:33], v[150:151]
	v_add_f64 v[148:149], v[32:33], v[148:149]
	v_fma_f64 v[238:239], v[38:39], s[18:19], v[238:239]
	v_fma_f64 v[172:173], v[38:39], s[42:43], v[170:171]
	;; [unrolled: 1-line block ×5, first 2 shown]
	v_add_f64 v[246:247], v[32:33], v[246:247]
	v_fma_f64 v[184:185], v[38:39], s[46:47], v[158:159]
	v_add_f64 v[32:33], v[32:33], v[78:79]
	v_fma_f64 v[38:39], v[38:39], s[36:37], v[158:159]
	v_add_f64 v[78:79], v[74:75], v[36:37]
	v_add_f64 v[36:37], v[74:75], -v[36:37]
	v_add_f64 v[162:163], v[34:35], v[162:163]
	v_add_f64 v[160:161], v[34:35], v[160:161]
	;; [unrolled: 1-line block ×13, first 2 shown]
	v_mul_f64 v[74:75], v[36:37], s[16:17]
	v_add_f64 v[42:43], v[76:77], -v[42:43]
	v_mul_f64 v[186:187], v[78:79], s[34:35]
	v_fma_f64 v[76:77], v[38:39], s[14:15], v[74:75]
	v_fma_f64 v[74:75], v[38:39], s[14:15], -v[74:75]
	v_add_f64 v[76:77], v[76:77], v[150:151]
	v_mul_f64 v[150:151], v[78:79], s[14:15]
	v_add_f64 v[74:75], v[74:75], v[148:149]
	v_fma_f64 v[156:157], v[42:43], s[44:45], v[150:151]
	v_fma_f64 v[148:149], v[42:43], s[16:17], v[150:151]
	v_mul_f64 v[150:151], v[36:37], s[24:25]
	v_add_f64 v[156:157], v[156:157], v[162:163]
	v_add_f64 v[148:149], v[148:149], v[160:161]
	v_fma_f64 v[158:159], v[38:39], s[22:23], v[150:151]
	v_mul_f64 v[160:161], v[78:79], s[22:23]
	v_fma_f64 v[150:151], v[38:39], s[22:23], -v[150:151]
	v_add_f64 v[158:159], v[158:159], v[166:167]
	v_fma_f64 v[162:163], v[42:43], s[42:43], v[160:161]
	v_add_f64 v[150:151], v[150:151], v[164:165]
	v_mul_f64 v[164:165], v[36:37], s[36:37]
	v_fma_f64 v[160:161], v[42:43], s[24:25], v[160:161]
	v_add_f64 v[162:163], v[162:163], v[232:233]
	v_mul_f64 v[232:233], v[36:37], s[40:41]
	v_fma_f64 v[166:167], v[38:39], s[34:35], v[164:165]
	v_fma_f64 v[164:165], v[38:39], s[34:35], -v[164:165]
	v_add_f64 v[160:161], v[160:161], v[198:199]
	v_fma_f64 v[198:199], v[42:43], s[46:47], v[186:187]
	v_fma_f64 v[186:187], v[42:43], s[36:37], v[186:187]
	v_add_f64 v[166:167], v[166:167], v[236:237]
	v_add_f64 v[164:165], v[164:165], v[234:235]
	v_fma_f64 v[234:235], v[38:39], s[26:27], v[232:233]
	v_fma_f64 v[232:233], v[38:39], s[26:27], -v[232:233]
	v_add_f64 v[186:187], v[186:187], v[238:239]
	v_add_f64 v[198:199], v[198:199], v[244:245]
	;; [unrolled: 1-line block ×3, first 2 shown]
	v_mul_f64 v[234:235], v[78:79], s[26:27]
	v_add_f64 v[174:175], v[232:233], v[174:175]
	v_fma_f64 v[232:233], v[42:43], s[40:41], v[234:235]
	v_fma_f64 v[236:237], v[42:43], s[28:29], v[234:235]
	v_add_f64 v[170:171], v[232:233], v[170:171]
	v_mul_f64 v[232:233], v[36:37], s[38:39]
	v_mul_f64 v[36:37], v[36:37], s[30:31]
	v_add_f64 v[172:173], v[236:237], v[172:173]
	v_fma_f64 v[234:235], v[38:39], s[20:21], v[232:233]
	v_fma_f64 v[232:233], v[38:39], s[20:21], -v[232:233]
	v_add_f64 v[176:177], v[234:235], v[176:177]
	v_mul_f64 v[234:235], v[78:79], s[20:21]
	v_add_f64 v[182:183], v[232:233], v[182:183]
	v_mul_f64 v[78:79], v[78:79], s[4:5]
	v_fma_f64 v[232:233], v[42:43], s[38:39], v[234:235]
	v_fma_f64 v[236:237], v[42:43], s[18:19], v[234:235]
	;; [unrolled: 1-line block ×3, first 2 shown]
	v_add_f64 v[178:179], v[232:233], v[178:179]
	v_fma_f64 v[232:233], v[38:39], s[4:5], v[36:37]
	v_fma_f64 v[36:37], v[38:39], s[4:5], -v[36:37]
	v_add_f64 v[38:39], v[70:71], v[40:41]
	v_add_f64 v[40:41], v[70:71], -v[40:41]
	v_add_f64 v[180:181], v[236:237], v[180:181]
	v_add_f64 v[184:185], v[234:235], v[184:185]
	;; [unrolled: 1-line block ×4, first 2 shown]
	v_fma_f64 v[36:37], v[42:43], s[30:31], v[78:79]
	v_add_f64 v[42:43], v[72:73], -v[46:47]
	v_add_f64 v[34:35], v[36:37], v[34:35]
	v_add_f64 v[36:37], v[72:73], v[46:47]
	v_mul_f64 v[46:47], v[40:41], s[18:19]
	v_mul_f64 v[72:73], v[38:39], s[20:21]
	v_fma_f64 v[70:71], v[36:37], s[20:21], v[46:47]
	v_fma_f64 v[46:47], v[36:37], s[20:21], -v[46:47]
	v_add_f64 v[70:71], v[70:71], v[76:77]
	v_add_f64 v[46:47], v[46:47], v[74:75]
	v_mul_f64 v[74:75], v[40:41], s[36:37]
	v_fma_f64 v[76:77], v[42:43], s[38:39], v[72:73]
	v_fma_f64 v[72:73], v[42:43], s[18:19], v[72:73]
	v_fma_f64 v[78:79], v[36:37], s[34:35], v[74:75]
	v_fma_f64 v[74:75], v[36:37], s[34:35], -v[74:75]
	v_add_f64 v[72:73], v[72:73], v[148:149]
	v_mul_f64 v[148:149], v[38:39], s[34:35]
	v_add_f64 v[76:77], v[76:77], v[156:157]
	v_add_f64 v[78:79], v[78:79], v[158:159]
	;; [unrolled: 1-line block ×3, first 2 shown]
	v_mul_f64 v[150:151], v[40:41], s[42:43]
	v_fma_f64 v[156:157], v[42:43], s[46:47], v[148:149]
	v_fma_f64 v[148:149], v[42:43], s[36:37], v[148:149]
	;; [unrolled: 1-line block ×3, first 2 shown]
	v_fma_f64 v[150:151], v[36:37], s[22:23], -v[150:151]
	v_add_f64 v[148:149], v[148:149], v[160:161]
	v_mul_f64 v[160:161], v[38:39], s[22:23]
	v_add_f64 v[156:157], v[156:157], v[162:163]
	v_add_f64 v[158:159], v[158:159], v[166:167]
	;; [unrolled: 1-line block ×3, first 2 shown]
	v_mul_f64 v[164:165], v[40:41], s[30:31]
	v_fma_f64 v[162:163], v[42:43], s[24:25], v[160:161]
	v_fma_f64 v[160:161], v[42:43], s[42:43], v[160:161]
	;; [unrolled: 1-line block ×3, first 2 shown]
	v_fma_f64 v[164:165], v[36:37], s[4:5], -v[164:165]
	v_add_f64 v[160:161], v[160:161], v[186:187]
	v_add_f64 v[162:163], v[162:163], v[198:199]
	;; [unrolled: 1-line block ×3, first 2 shown]
	v_mul_f64 v[168:169], v[38:39], s[4:5]
	v_add_f64 v[164:165], v[164:165], v[174:175]
	v_fma_f64 v[186:187], v[42:43], s[6:7], v[168:169]
	v_fma_f64 v[168:169], v[42:43], s[30:31], v[168:169]
	v_add_f64 v[172:173], v[186:187], v[172:173]
	v_add_f64 v[168:169], v[168:169], v[170:171]
	v_mul_f64 v[170:171], v[40:41], s[16:17]
	v_mul_f64 v[40:41], v[40:41], s[28:29]
	v_fma_f64 v[174:175], v[36:37], s[14:15], v[170:171]
	v_fma_f64 v[170:171], v[36:37], s[14:15], -v[170:171]
	v_add_f64 v[174:175], v[174:175], v[176:177]
	v_mul_f64 v[176:177], v[38:39], s[14:15]
	v_mul_f64 v[38:39], v[38:39], s[26:27]
	v_add_f64 v[170:171], v[170:171], v[182:183]
	v_fma_f64 v[186:187], v[42:43], s[44:45], v[176:177]
	v_fma_f64 v[176:177], v[42:43], s[16:17], v[176:177]
	;; [unrolled: 1-line block ×3, first 2 shown]
	v_add_f64 v[180:181], v[186:187], v[180:181]
	v_add_f64 v[176:177], v[176:177], v[178:179]
	v_fma_f64 v[178:179], v[36:37], s[26:27], v[40:41]
	v_fma_f64 v[36:37], v[36:37], s[26:27], -v[40:41]
	v_add_f64 v[40:41], v[68:69], -v[50:51]
	v_add_f64 v[182:183], v[182:183], v[184:185]
	v_add_f64 v[178:179], v[178:179], v[232:233]
	;; [unrolled: 1-line block ×3, first 2 shown]
	v_fma_f64 v[36:37], v[42:43], s[28:29], v[38:39]
	v_add_f64 v[42:43], v[66:67], -v[44:45]
	v_add_f64 v[38:39], v[66:67], v[44:45]
	v_add_f64 v[34:35], v[36:37], v[34:35]
	;; [unrolled: 1-line block ×3, first 2 shown]
	v_mul_f64 v[44:45], v[42:43], s[24:25]
	v_mul_f64 v[66:67], v[38:39], s[22:23]
	v_fma_f64 v[50:51], v[36:37], s[22:23], v[44:45]
	v_fma_f64 v[44:45], v[36:37], s[22:23], -v[44:45]
	v_fma_f64 v[68:69], v[40:41], s[42:43], v[66:67]
	v_add_f64 v[50:51], v[50:51], v[70:71]
	v_add_f64 v[44:45], v[44:45], v[46:47]
	v_fma_f64 v[46:47], v[40:41], s[24:25], v[66:67]
	v_mul_f64 v[66:67], v[42:43], s[40:41]
	v_add_f64 v[68:69], v[68:69], v[76:77]
	v_add_f64 v[46:47], v[46:47], v[72:73]
	v_fma_f64 v[70:71], v[36:37], s[26:27], v[66:67]
	v_fma_f64 v[66:67], v[36:37], s[26:27], -v[66:67]
	v_mul_f64 v[72:73], v[38:39], s[26:27]
	v_add_f64 v[70:71], v[70:71], v[78:79]
	v_add_f64 v[66:67], v[66:67], v[74:75]
	v_mul_f64 v[74:75], v[42:43], s[30:31]
	v_fma_f64 v[76:77], v[40:41], s[28:29], v[72:73]
	v_fma_f64 v[72:73], v[40:41], s[40:41], v[72:73]
	;; [unrolled: 1-line block ×3, first 2 shown]
	v_fma_f64 v[74:75], v[36:37], s[4:5], -v[74:75]
	v_add_f64 v[72:73], v[72:73], v[148:149]
	v_mul_f64 v[148:149], v[38:39], s[4:5]
	v_add_f64 v[76:77], v[76:77], v[156:157]
	v_add_f64 v[78:79], v[78:79], v[158:159]
	;; [unrolled: 1-line block ×3, first 2 shown]
	v_mul_f64 v[150:151], v[42:43], s[18:19]
	v_fma_f64 v[156:157], v[40:41], s[6:7], v[148:149]
	v_fma_f64 v[148:149], v[40:41], s[30:31], v[148:149]
	;; [unrolled: 1-line block ×3, first 2 shown]
	v_fma_f64 v[150:151], v[36:37], s[20:21], -v[150:151]
	v_add_f64 v[148:149], v[148:149], v[160:161]
	v_mul_f64 v[160:161], v[38:39], s[20:21]
	v_add_f64 v[156:157], v[156:157], v[162:163]
	v_add_f64 v[158:159], v[158:159], v[166:167]
	;; [unrolled: 1-line block ×3, first 2 shown]
	v_mul_f64 v[164:165], v[42:43], s[46:47]
	v_fma_f64 v[162:163], v[40:41], s[38:39], v[160:161]
	v_fma_f64 v[160:161], v[40:41], s[18:19], v[160:161]
	v_mul_f64 v[42:43], v[42:43], s[44:45]
	v_fma_f64 v[166:167], v[36:37], s[34:35], v[164:165]
	v_fma_f64 v[164:165], v[36:37], s[34:35], -v[164:165]
	v_add_f64 v[160:161], v[160:161], v[168:169]
	v_mul_f64 v[168:169], v[38:39], s[34:35]
	v_mul_f64 v[38:39], v[38:39], s[14:15]
	v_add_f64 v[162:163], v[162:163], v[172:173]
	v_add_f64 v[166:167], v[166:167], v[174:175]
	;; [unrolled: 1-line block ×3, first 2 shown]
	v_fma_f64 v[170:171], v[36:37], s[14:15], v[42:43]
	v_fma_f64 v[36:37], v[36:37], s[14:15], -v[42:43]
	v_add_f64 v[42:43], v[62:63], -v[48:49]
	v_fma_f64 v[174:175], v[40:41], s[16:17], v[38:39]
	v_fma_f64 v[172:173], v[40:41], s[36:37], v[168:169]
	;; [unrolled: 1-line block ×3, first 2 shown]
	v_add_f64 v[170:171], v[170:171], v[178:179]
	v_add_f64 v[32:33], v[36:37], v[32:33]
	v_fma_f64 v[36:37], v[40:41], s[44:45], v[38:39]
	v_add_f64 v[38:39], v[62:63], v[48:49]
	v_mul_f64 v[48:49], v[42:43], s[28:29]
	v_add_f64 v[40:41], v[64:65], -v[54:55]
	v_add_f64 v[172:173], v[172:173], v[180:181]
	v_add_f64 v[168:169], v[168:169], v[176:177]
	v_add_f64 v[178:179], v[56:57], -v[52:53]
	v_add_f64 v[174:175], v[174:175], v[182:183]
	v_add_f64 v[34:35], v[36:37], v[34:35]
	;; [unrolled: 1-line block ×3, first 2 shown]
	v_mul_f64 v[64:65], v[38:39], s[20:21]
	v_add_f64 v[176:177], v[60:61], -v[58:59]
	v_fma_f64 v[54:55], v[36:37], s[26:27], v[48:49]
	v_fma_f64 v[48:49], v[36:37], s[26:27], -v[48:49]
	v_add_f64 v[50:51], v[54:55], v[50:51]
	v_mul_f64 v[54:55], v[38:39], s[26:27]
	v_add_f64 v[44:45], v[48:49], v[44:45]
	v_fma_f64 v[48:49], v[40:41], s[28:29], v[54:55]
	v_fma_f64 v[62:63], v[40:41], s[40:41], v[54:55]
	v_add_f64 v[46:47], v[48:49], v[46:47]
	v_mul_f64 v[48:49], v[42:43], s[38:39]
	v_add_f64 v[62:63], v[62:63], v[68:69]
	v_fma_f64 v[68:69], v[40:41], s[18:19], v[64:65]
	v_fma_f64 v[64:65], v[40:41], s[38:39], v[64:65]
	;; [unrolled: 1-line block ×3, first 2 shown]
	v_fma_f64 v[48:49], v[36:37], s[20:21], -v[48:49]
	v_add_f64 v[68:69], v[68:69], v[76:77]
	v_add_f64 v[64:65], v[64:65], v[72:73]
	v_mul_f64 v[72:73], v[38:39], s[14:15]
	v_add_f64 v[54:55], v[54:55], v[70:71]
	v_add_f64 v[48:49], v[48:49], v[66:67]
	v_mul_f64 v[66:67], v[42:43], s[16:17]
	v_fma_f64 v[76:77], v[40:41], s[44:45], v[72:73]
	v_fma_f64 v[72:73], v[40:41], s[16:17], v[72:73]
	;; [unrolled: 1-line block ×3, first 2 shown]
	v_fma_f64 v[66:67], v[36:37], s[14:15], -v[66:67]
	v_add_f64 v[76:77], v[76:77], v[156:157]
	v_add_f64 v[72:73], v[72:73], v[148:149]
	v_mul_f64 v[148:149], v[38:39], s[34:35]
	v_add_f64 v[70:71], v[70:71], v[78:79]
	v_add_f64 v[66:67], v[66:67], v[74:75]
	v_mul_f64 v[74:75], v[42:43], s[46:47]
	v_fma_f64 v[156:157], v[40:41], s[36:37], v[148:149]
	v_fma_f64 v[148:149], v[40:41], s[46:47], v[148:149]
	;; [unrolled: 1-line block ×3, first 2 shown]
	v_fma_f64 v[74:75], v[36:37], s[34:35], -v[74:75]
	v_add_f64 v[156:157], v[156:157], v[162:163]
	v_add_f64 v[148:149], v[148:149], v[160:161]
	v_mul_f64 v[160:161], v[38:39], s[4:5]
	v_mul_f64 v[38:39], v[38:39], s[22:23]
	v_add_f64 v[78:79], v[78:79], v[158:159]
	v_add_f64 v[74:75], v[74:75], v[150:151]
	v_mul_f64 v[150:151], v[42:43], s[30:31]
	v_mul_f64 v[42:43], v[42:43], s[24:25]
	v_fma_f64 v[162:163], v[40:41], s[6:7], v[160:161]
	v_fma_f64 v[160:161], v[40:41], s[30:31], v[160:161]
	;; [unrolled: 1-line block ×3, first 2 shown]
	v_fma_f64 v[150:151], v[36:37], s[4:5], -v[150:151]
	v_add_f64 v[162:163], v[162:163], v[172:173]
	v_add_f64 v[160:161], v[160:161], v[168:169]
	;; [unrolled: 1-line block ×3, first 2 shown]
	v_mul_f64 v[60:61], v[178:179], s[44:45]
	v_add_f64 v[158:159], v[158:159], v[166:167]
	v_add_f64 v[150:151], v[150:151], v[164:165]
	v_fma_f64 v[164:165], v[36:37], s[22:23], v[42:43]
	v_fma_f64 v[36:37], v[36:37], s[22:23], -v[42:43]
	v_fma_f64 v[166:167], v[40:41], s[42:43], v[38:39]
	v_add_f64 v[164:165], v[164:165], v[170:171]
	v_add_f64 v[168:169], v[36:37], v[32:33]
	v_fma_f64 v[32:33], v[40:41], s[24:25], v[38:39]
	v_mul_f64 v[36:37], v[178:179], s[36:37]
	v_add_f64 v[166:167], v[166:167], v[174:175]
	v_add_f64 v[174:175], v[56:57], v[52:53]
	v_mul_f64 v[52:53], v[178:179], s[28:29]
	v_fma_f64 v[56:57], v[172:173], s[14:15], v[60:61]
	v_fma_f64 v[60:61], v[172:173], s[14:15], -v[60:61]
	v_add_f64 v[170:171], v[32:33], v[34:35]
	v_fma_f64 v[32:33], v[172:173], s[34:35], v[36:37]
	v_fma_f64 v[36:37], v[172:173], s[34:35], -v[36:37]
	v_mul_f64 v[38:39], v[174:175], s[34:35]
	v_add_f64 v[56:57], v[56:57], v[78:79]
	v_mul_f64 v[78:79], v[174:175], s[20:21]
	v_add_f64 v[60:61], v[60:61], v[74:75]
	v_add_f64 v[32:33], v[32:33], v[50:51]
	;; [unrolled: 1-line block ×3, first 2 shown]
	v_mul_f64 v[44:45], v[178:179], s[30:31]
	v_fma_f64 v[34:35], v[176:177], s[46:47], v[38:39]
	v_fma_f64 v[38:39], v[176:177], s[36:37], v[38:39]
	;; [unrolled: 1-line block ×5, first 2 shown]
	v_fma_f64 v[44:45], v[172:173], s[4:5], -v[44:45]
	v_add_f64 v[38:39], v[38:39], v[46:47]
	v_mul_f64 v[46:47], v[174:175], s[4:5]
	v_add_f64 v[34:35], v[34:35], v[62:63]
	v_mul_f64 v[62:63], v[174:175], s[14:15]
	v_add_f64 v[74:75], v[74:75], v[166:167]
	v_add_f64 v[78:79], v[78:79], v[170:171]
	;; [unrolled: 1-line block ×3, first 2 shown]
	v_mul_f64 v[54:55], v[174:175], s[26:27]
	v_add_f64 v[44:45], v[44:45], v[48:49]
	v_fma_f64 v[42:43], v[176:177], s[6:7], v[46:47]
	v_fma_f64 v[48:49], v[172:173], s[26:27], v[52:53]
	;; [unrolled: 1-line block ×3, first 2 shown]
	v_fma_f64 v[52:53], v[172:173], s[26:27], -v[52:53]
	v_fma_f64 v[58:59], v[176:177], s[16:17], v[62:63]
	v_fma_f64 v[62:63], v[176:177], s[44:45], v[62:63]
	v_fma_f64 v[50:51], v[176:177], s[40:41], v[54:55]
	v_fma_f64 v[54:55], v[176:177], s[28:29], v[54:55]
	v_add_f64 v[42:43], v[42:43], v[68:69]
	v_add_f64 v[48:49], v[48:49], v[70:71]
	v_mul_f64 v[68:69], v[178:179], s[24:25]
	v_mul_f64 v[70:71], v[174:175], s[22:23]
	v_add_f64 v[46:47], v[46:47], v[64:65]
	v_add_f64 v[52:53], v[52:53], v[66:67]
	;; [unrolled: 1-line block ×3, first 2 shown]
	v_mul_f64 v[76:77], v[178:179], s[38:39]
	v_add_f64 v[54:55], v[54:55], v[72:73]
	v_add_f64 v[58:59], v[58:59], v[156:157]
	v_fma_f64 v[64:65], v[172:173], s[22:23], v[68:69]
	v_fma_f64 v[66:67], v[176:177], s[42:43], v[70:71]
	v_fma_f64 v[68:69], v[172:173], s[22:23], -v[68:69]
	v_fma_f64 v[70:71], v[176:177], s[24:25], v[70:71]
	v_add_f64 v[62:63], v[62:63], v[148:149]
	v_fma_f64 v[72:73], v[172:173], s[20:21], v[76:77]
	v_fma_f64 v[76:77], v[172:173], s[20:21], -v[76:77]
	v_add_f64 v[64:65], v[64:65], v[158:159]
	v_add_f64 v[66:67], v[66:67], v[162:163]
	;; [unrolled: 1-line block ×6, first 2 shown]
	ds_write_b128 v197, v[28:31]
	ds_write_b128 v197, v[32:35] offset:64
	ds_write_b128 v197, v[40:43] offset:128
	;; [unrolled: 1-line block ×12, first 2 shown]
	s_and_saveexec_b64 s[48:49], s[2:3]
	s_cbranch_execz .LBB0_29
; %bb.28:
	v_mul_f64 v[28:29], v[126:127], v[22:23]
	v_fma_f64 v[38:39], v[124:125], v[20:21], v[28:29]
	v_mul_f64 v[20:21], v[126:127], v[20:21]
	v_mul_f64 v[28:29], v[122:123], v[26:27]
	v_fma_f64 v[54:55], v[124:125], v[22:23], -v[20:21]
	v_mul_f64 v[20:21], v[122:123], v[24:25]
	v_mul_f64 v[22:23], v[110:111], v[14:15]
	v_fma_f64 v[36:37], v[120:121], v[24:25], v[28:29]
	v_fma_f64 v[56:57], v[120:121], v[26:27], -v[20:21]
	v_fma_f64 v[48:49], v[108:109], v[12:13], v[22:23]
	v_mul_f64 v[12:13], v[110:111], v[12:13]
	buffer_load_dword v24, off, s[56:59], 0 offset:92 ; 4-byte Folded Reload
	buffer_load_dword v25, off, s[56:59], 0 offset:96 ; 4-byte Folded Reload
	;; [unrolled: 1-line block ×4, first 2 shown]
	v_mul_f64 v[22:23], v[114:115], v[18:19]
	v_add_f64 v[232:233], v[38:39], -v[36:37]
	v_add_f64 v[120:121], v[54:55], v[56:57]
	v_fma_f64 v[62:63], v[108:109], v[14:15], -v[12:13]
	v_mul_f64 v[12:13], v[114:115], v[16:17]
	v_fma_f64 v[40:41], v[112:113], v[16:17], v[22:23]
	v_mul_f64 v[28:29], v[232:233], s[38:39]
	v_add_f64 v[114:115], v[54:55], -v[56:57]
	v_fma_f64 v[60:61], v[112:113], v[18:19], -v[12:13]
	buffer_load_dword v16, off, s[56:59], 0 offset:76 ; 4-byte Folded Reload
	buffer_load_dword v17, off, s[56:59], 0 offset:80 ; 4-byte Folded Reload
	;; [unrolled: 1-line block ×4, first 2 shown]
	v_add_f64 v[122:123], v[48:49], -v[40:41]
	v_fma_f64 v[20:21], v[120:121], s[20:21], v[28:29]
	v_add_f64 v[108:109], v[62:63], v[60:61]
	v_mul_f64 v[22:23], v[122:123], s[24:25]
	v_fma_f64 v[12:13], v[108:109], s[22:23], v[22:23]
	s_waitcnt vmcnt(4)
	v_mul_f64 v[14:15], v[26:27], v[10:11]
	v_fma_f64 v[50:51], v[24:25], v[8:9], v[14:15]
	v_mul_f64 v[8:9], v[26:27], v[8:9]
	s_waitcnt vmcnt(0)
	v_mul_f64 v[14:15], v[118:119], v[18:19]
	v_fma_f64 v[68:69], v[24:25], v[10:11], -v[8:9]
	v_mul_f64 v[8:9], v[118:119], v[16:17]
	v_mul_f64 v[10:11], v[94:95], v[6:7]
	v_fma_f64 v[42:43], v[116:117], v[16:17], v[14:15]
	v_fma_f64 v[66:67], v[116:117], v[18:19], -v[8:9]
	buffer_load_dword v16, off, s[56:59], 0 offset:60 ; 4-byte Folded Reload
	buffer_load_dword v17, off, s[56:59], 0 offset:64 ; 4-byte Folded Reload
	;; [unrolled: 1-line block ×4, first 2 shown]
	v_fma_f64 v[58:59], v[92:93], v[4:5], v[10:11]
	v_mul_f64 v[4:5], v[94:95], v[4:5]
	v_add_f64 v[116:117], v[62:63], -v[60:61]
	v_add_f64 v[110:111], v[50:51], -v[42:43]
	v_add_f64 v[96:97], v[68:69], v[66:67]
	v_add_f64 v[118:119], v[68:69], -v[66:67]
	v_fma_f64 v[72:73], v[92:93], v[6:7], -v[4:5]
	v_mul_f64 v[6:7], v[86:87], v[2:3]
	v_mul_f64 v[14:15], v[110:111], s[44:45]
	v_fma_f64 v[64:65], v[84:85], v[0:1], v[6:7]
	v_mul_f64 v[0:1], v[86:87], v[0:1]
	v_fma_f64 v[8:9], v[96:97], s[14:15], v[14:15]
	v_fma_f64 v[14:15], v[96:97], s[14:15], -v[14:15]
	v_fma_f64 v[76:77], v[84:85], v[2:3], -v[0:1]
	v_mul_f64 v[2:3], v[82:83], v[254:255]
	v_fma_f64 v[78:79], v[80:81], v[252:253], v[2:3]
	s_waitcnt vmcnt(0)
	v_mul_f64 v[10:11], v[106:107], v[18:19]
	v_mul_f64 v[4:5], v[106:107], v[16:17]
	v_fma_f64 v[46:47], v[104:105], v[16:17], v[10:11]
	v_fma_f64 v[70:71], v[104:105], v[18:19], -v[4:5]
	buffer_load_dword v16, off, s[56:59], 0 offset:44 ; 4-byte Folded Reload
	buffer_load_dword v17, off, s[56:59], 0 offset:48 ; 4-byte Folded Reload
	;; [unrolled: 1-line block ×8, first 2 shown]
	v_add_f64 v[98:99], v[58:59], -v[46:47]
	v_add_f64 v[92:93], v[72:73], v[70:71]
	v_add_f64 v[124:125], v[72:73], -v[70:71]
	v_add_f64 v[104:105], v[58:59], v[46:47]
	v_mul_f64 v[10:11], v[98:99], s[28:29]
	v_fma_f64 v[4:5], v[92:93], s[26:27], v[10:11]
	v_fma_f64 v[10:11], v[92:93], s[26:27], -v[10:11]
	s_waitcnt vmcnt(4)
	v_mul_f64 v[6:7], v[102:103], v[18:19]
	s_waitcnt vmcnt(0)
	v_mul_f64 v[2:3], v[90:91], v[26:27]
	v_mul_f64 v[0:1], v[102:103], v[16:17]
	v_add_f64 v[102:103], v[50:51], v[42:43]
	v_fma_f64 v[44:45], v[100:101], v[16:17], v[6:7]
	v_fma_f64 v[52:53], v[88:89], v[24:25], v[2:3]
	v_mul_f64 v[2:3], v[82:83], v[252:253]
	v_fma_f64 v[74:75], v[100:101], v[18:19], -v[0:1]
	v_mul_f64 v[18:19], v[118:119], s[44:45]
	v_add_f64 v[94:95], v[64:65], -v[44:45]
	v_add_f64 v[100:101], v[78:79], -v[52:53]
	v_fma_f64 v[80:81], v[80:81], v[254:255], -v[2:3]
	v_mul_f64 v[2:3], v[90:91], v[24:25]
	v_add_f64 v[84:85], v[76:77], v[74:75]
	v_add_f64 v[126:127], v[76:77], -v[74:75]
	v_add_f64 v[112:113], v[78:79], v[52:53]
	v_add_f64 v[106:107], v[64:65], v[44:45]
	v_mul_f64 v[6:7], v[94:95], s[30:31]
	v_mul_f64 v[16:17], v[100:101], s[36:37]
	;; [unrolled: 1-line block ×3, first 2 shown]
	v_fma_f64 v[82:83], v[88:89], v[26:27], -v[2:3]
	v_add_f64 v[90:91], v[48:49], v[40:41]
	v_mul_f64 v[30:31], v[126:127], s[30:31]
	v_add_f64 v[88:89], v[38:39], v[36:37]
	v_mul_f64 v[150:151], v[126:127], s[38:39]
	v_fma_f64 v[0:1], v[84:85], s[4:5], v[6:7]
	v_fma_f64 v[6:7], v[84:85], s[4:5], -v[6:7]
	v_fma_f64 v[26:27], v[104:105], s[26:27], -v[24:25]
	v_add_f64 v[86:87], v[80:81], v[82:83]
	v_add_f64 v[234:235], v[80:81], -v[82:83]
	v_fma_f64 v[32:33], v[106:107], s[4:5], -v[30:31]
	v_mul_f64 v[162:163], v[126:127], s[40:41]
	v_fma_f64 v[156:157], v[106:107], s[20:21], -v[150:151]
	v_mul_f64 v[170:171], v[126:127], s[36:37]
	v_add_f64 v[80:81], v[250:251], v[80:81]
	v_mul_f64 v[178:179], v[126:127], s[24:25]
	v_fma_f64 v[2:3], v[86:87], s[34:35], v[16:17]
	v_mul_f64 v[34:35], v[234:235], s[36:37]
	v_fma_f64 v[16:17], v[86:87], s[34:35], -v[16:17]
	v_mul_f64 v[158:159], v[234:235], s[28:29]
	v_mul_f64 v[166:167], v[234:235], s[24:25]
	v_fma_f64 v[164:165], v[106:107], s[26:27], -v[162:163]
	v_mul_f64 v[174:175], v[234:235], s[18:19]
	v_fma_f64 v[172:173], v[106:107], s[34:35], -v[170:171]
	v_add_f64 v[2:3], v[250:251], v[2:3]
	v_fma_f64 v[148:149], v[112:113], s[34:35], -v[34:35]
	v_add_f64 v[16:17], v[250:251], v[16:17]
	v_fma_f64 v[160:161], v[112:113], s[26:27], -v[158:159]
	v_fma_f64 v[168:169], v[112:113], s[22:23], -v[166:167]
	v_add_f64 v[76:77], v[80:81], v[76:77]
	v_fma_f64 v[176:177], v[112:113], s[20:21], -v[174:175]
	v_mul_f64 v[182:183], v[234:235], s[16:17]
	v_add_f64 v[0:1], v[0:1], v[2:3]
	v_add_f64 v[148:149], v[248:249], v[148:149]
	;; [unrolled: 1-line block ×3, first 2 shown]
	v_fma_f64 v[16:17], v[112:113], s[34:35], v[34:35]
	v_mul_f64 v[34:35], v[124:125], s[16:17]
	v_add_f64 v[160:161], v[248:249], v[160:161]
	v_add_f64 v[168:169], v[248:249], v[168:169]
	;; [unrolled: 1-line block ×5, first 2 shown]
	v_mul_f64 v[4:5], v[114:115], s[38:39]
	v_add_f64 v[6:7], v[10:11], v[6:7]
	v_add_f64 v[16:17], v[248:249], v[16:17]
	v_fma_f64 v[10:11], v[102:103], s[14:15], v[18:19]
	v_fma_f64 v[148:149], v[104:105], s[14:15], -v[34:35]
	v_add_f64 v[156:157], v[156:157], v[160:161]
	v_add_f64 v[0:1], v[8:9], v[0:1]
	v_mul_f64 v[8:9], v[116:117], s[24:25]
	v_add_f64 v[26:27], v[26:27], v[32:33]
	v_add_f64 v[6:7], v[14:15], v[6:7]
	v_fma_f64 v[14:15], v[106:107], s[4:5], v[30:31]
	v_add_f64 v[164:165], v[164:165], v[168:169]
	v_add_f64 v[172:173], v[172:173], v[176:177]
	;; [unrolled: 1-line block ×4, first 2 shown]
	v_fma_f64 v[12:13], v[90:91], s[22:23], -v[8:9]
	v_fma_f64 v[8:9], v[90:91], s[22:23], v[8:9]
	v_add_f64 v[72:73], v[76:77], v[72:73]
	v_add_f64 v[14:15], v[14:15], v[16:17]
	v_mul_f64 v[16:17], v[110:111], s[46:47]
	v_fma_f64 v[184:185], v[112:113], s[14:15], -v[182:183]
	v_fma_f64 v[180:181], v[106:107], s[22:23], -v[178:179]
	v_add_f64 v[2:3], v[20:21], v[0:1]
	v_fma_f64 v[20:21], v[102:103], s[14:15], -v[18:19]
	v_fma_f64 v[0:1], v[88:89], s[20:21], -v[4:5]
	v_fma_f64 v[4:5], v[88:89], s[20:21], v[4:5]
	v_add_f64 v[68:69], v[72:73], v[68:69]
	v_fma_f64 v[18:19], v[96:97], s[34:35], v[16:17]
	v_fma_f64 v[16:17], v[96:97], s[34:35], -v[16:17]
	v_add_f64 v[184:185], v[248:249], v[184:185]
	v_mul_f64 v[126:127], v[126:127], s[16:17]
	v_add_f64 v[20:21], v[20:21], v[26:27]
	v_add_f64 v[62:63], v[68:69], v[62:63]
	;; [unrolled: 1-line block ×4, first 2 shown]
	v_fma_f64 v[20:21], v[108:109], s[22:23], -v[22:23]
	v_add_f64 v[54:55], v[62:63], v[54:55]
	v_add_f64 v[0:1], v[0:1], v[12:13]
	v_fma_f64 v[12:13], v[120:121], s[20:21], -v[28:29]
	v_add_f64 v[6:7], v[20:21], v[6:7]
	v_mul_f64 v[28:29], v[100:101], s[28:29]
	v_mul_f64 v[20:21], v[98:99], s[16:17]
	v_add_f64 v[54:55], v[54:55], v[56:57]
	v_add_f64 v[56:57], v[248:249], v[78:79]
	;; [unrolled: 1-line block ×3, first 2 shown]
	v_fma_f64 v[12:13], v[104:105], s[26:27], v[24:25]
	v_mul_f64 v[24:25], v[94:95], s[38:39]
	v_fma_f64 v[30:31], v[86:87], s[26:27], v[28:29]
	v_fma_f64 v[22:23], v[92:93], s[14:15], v[20:21]
	v_fma_f64 v[20:21], v[92:93], s[14:15], -v[20:21]
	v_add_f64 v[56:57], v[56:57], v[64:65]
	v_add_f64 v[54:55], v[54:55], v[60:61]
	;; [unrolled: 1-line block ×3, first 2 shown]
	v_fma_f64 v[26:27], v[84:85], s[20:21], v[24:25]
	v_add_f64 v[30:31], v[250:251], v[30:31]
	v_mul_f64 v[14:15], v[122:123], s[30:31]
	v_fma_f64 v[24:25], v[84:85], s[20:21], -v[24:25]
	v_add_f64 v[56:57], v[56:57], v[58:59]
	v_add_f64 v[54:55], v[54:55], v[66:67]
	;; [unrolled: 1-line block ×3, first 2 shown]
	v_mul_f64 v[12:13], v[232:233], s[24:25]
	v_add_f64 v[26:27], v[26:27], v[30:31]
	v_mul_f64 v[30:31], v[118:119], s[46:47]
	v_add_f64 v[50:51], v[56:57], v[50:51]
	v_add_f64 v[54:55], v[54:55], v[70:71]
	;; [unrolled: 1-line block ×3, first 2 shown]
	v_fma_f64 v[10:11], v[108:109], s[4:5], v[14:15]
	v_add_f64 v[22:23], v[22:23], v[26:27]
	v_fma_f64 v[32:33], v[102:103], s[34:35], -v[30:31]
	v_fma_f64 v[14:15], v[108:109], s[4:5], -v[14:15]
	v_add_f64 v[48:49], v[50:51], v[48:49]
	v_add_f64 v[54:55], v[54:55], v[74:75]
	;; [unrolled: 1-line block ×3, first 2 shown]
	v_fma_f64 v[8:9], v[120:121], s[22:23], v[12:13]
	v_add_f64 v[18:19], v[18:19], v[22:23]
	v_mul_f64 v[22:23], v[116:117], s[30:31]
	v_add_f64 v[32:33], v[32:33], v[148:149]
	v_mul_f64 v[148:149], v[100:101], s[24:25]
	v_fma_f64 v[12:13], v[120:121], s[22:23], -v[12:13]
	v_add_f64 v[38:39], v[48:49], v[38:39]
	v_add_f64 v[54:55], v[54:55], v[82:83]
	;; [unrolled: 1-line block ×3, first 2 shown]
	v_mul_f64 v[18:19], v[114:115], s[24:25]
	v_fma_f64 v[26:27], v[90:91], s[4:5], -v[22:23]
	v_add_f64 v[36:37], v[38:39], v[36:37]
	v_add_f64 v[10:11], v[8:9], v[10:11]
	v_fma_f64 v[8:9], v[88:89], s[22:23], -v[18:19]
	v_add_f64 v[26:27], v[26:27], v[32:33]
	v_mul_f64 v[32:33], v[94:95], s[40:41]
	v_add_f64 v[36:37], v[36:37], v[40:41]
	v_add_f64 v[8:9], v[8:9], v[26:27]
	v_fma_f64 v[26:27], v[86:87], s[26:27], -v[28:29]
	v_mul_f64 v[28:29], v[98:99], s[30:31]
	v_add_f64 v[36:37], v[36:37], v[42:43]
	v_add_f64 v[26:27], v[250:251], v[26:27]
	v_add_f64 v[36:37], v[36:37], v[46:47]
	v_add_f64 v[24:25], v[24:25], v[26:27]
	v_add_f64 v[36:37], v[36:37], v[44:45]
	v_add_f64 v[20:21], v[20:21], v[24:25]
	v_fma_f64 v[24:25], v[112:113], s[26:27], v[158:159]
	v_mul_f64 v[158:159], v[124:125], s[30:31]
	v_add_f64 v[52:53], v[36:37], v[52:53]
	buffer_load_dword v36, off, s[56:59], 0 offset:440 ; 4-byte Folded Reload
	buffer_load_dword v37, off, s[56:59], 0 offset:8 ; 4-byte Folded Reload
	v_add_f64 v[16:17], v[16:17], v[20:21]
	v_add_f64 v[24:25], v[248:249], v[24:25]
	v_fma_f64 v[20:21], v[104:105], s[14:15], v[34:35]
	v_fma_f64 v[34:35], v[84:85], s[26:27], v[32:33]
	v_fma_f64 v[160:161], v[104:105], s[4:5], -v[158:159]
	v_fma_f64 v[32:33], v[84:85], s[26:27], -v[32:33]
	v_add_f64 v[14:15], v[14:15], v[16:17]
	v_fma_f64 v[16:17], v[90:91], s[4:5], v[22:23]
	v_fma_f64 v[22:23], v[106:107], s[20:21], v[150:151]
	;; [unrolled: 1-line block ×3, first 2 shown]
	v_add_f64 v[160:161], v[160:161], v[164:165]
	v_add_f64 v[14:15], v[12:13], v[14:15]
	v_fma_f64 v[12:13], v[88:89], s[22:23], v[18:19]
	v_add_f64 v[22:23], v[22:23], v[24:25]
	v_add_f64 v[150:151], v[250:251], v[150:151]
	v_fma_f64 v[18:19], v[102:103], s[34:35], v[30:31]
	v_mul_f64 v[24:25], v[110:111], s[18:19]
	v_fma_f64 v[30:31], v[92:93], s[4:5], v[28:29]
	v_fma_f64 v[28:29], v[92:93], s[4:5], -v[28:29]
	v_add_f64 v[20:21], v[20:21], v[22:23]
	v_add_f64 v[34:35], v[34:35], v[150:151]
	v_mul_f64 v[22:23], v[122:123], s[46:47]
	v_fma_f64 v[26:27], v[96:97], s[20:21], v[24:25]
	v_mul_f64 v[150:151], v[118:119], s[18:19]
	v_fma_f64 v[24:25], v[96:97], s[20:21], -v[24:25]
	v_add_f64 v[18:19], v[18:19], v[20:21]
	v_add_f64 v[30:31], v[30:31], v[34:35]
	v_mul_f64 v[20:21], v[232:233], s[44:45]
	v_fma_f64 v[156:157], v[102:103], s[20:21], -v[150:151]
	v_add_f64 v[16:17], v[16:17], v[18:19]
	v_fma_f64 v[18:19], v[108:109], s[34:35], v[22:23]
	v_add_f64 v[26:27], v[26:27], v[30:31]
	v_mul_f64 v[30:31], v[116:117], s[46:47]
	v_add_f64 v[156:157], v[156:157], v[160:161]
	v_fma_f64 v[22:23], v[108:109], s[34:35], -v[22:23]
	v_mul_f64 v[160:161], v[100:101], s[18:19]
	v_add_f64 v[12:13], v[12:13], v[16:17]
	v_fma_f64 v[16:17], v[120:121], s[14:15], v[20:21]
	v_add_f64 v[18:19], v[18:19], v[26:27]
	v_mul_f64 v[26:27], v[114:115], s[44:45]
	v_fma_f64 v[34:35], v[90:91], s[34:35], -v[30:31]
	v_fma_f64 v[20:21], v[120:121], s[14:15], -v[20:21]
	v_add_f64 v[18:19], v[16:17], v[18:19]
	v_fma_f64 v[16:17], v[88:89], s[14:15], -v[26:27]
	v_add_f64 v[34:35], v[34:35], v[156:157]
	v_mul_f64 v[156:157], v[94:95], s[36:37]
	v_add_f64 v[16:17], v[16:17], v[34:35]
	v_fma_f64 v[34:35], v[86:87], s[22:23], -v[148:149]
	v_mul_f64 v[148:149], v[98:99], s[42:43]
	s_waitcnt vmcnt(1)
	v_mul_u32_u24_e32 v36, 52, v36
	s_waitcnt vmcnt(0)
	v_or_b32_e32 v36, v36, v37
	v_lshlrev_b32_e32 v36, 4, v36
	v_add_f64 v[34:35], v[250:251], v[34:35]
	v_add_f64 v[32:33], v[32:33], v[34:35]
	v_add_f64 v[28:29], v[28:29], v[32:33]
	v_fma_f64 v[32:33], v[112:113], s[22:23], v[166:167]
	v_mul_f64 v[166:167], v[124:125], s[42:43]
	v_add_f64 v[24:25], v[24:25], v[28:29]
	v_add_f64 v[32:33], v[248:249], v[32:33]
	v_fma_f64 v[28:29], v[104:105], s[4:5], v[158:159]
	v_fma_f64 v[158:159], v[84:85], s[34:35], v[156:157]
	v_fma_f64 v[168:169], v[104:105], s[22:23], -v[166:167]
	v_fma_f64 v[156:157], v[84:85], s[34:35], -v[156:157]
	v_add_f64 v[22:23], v[22:23], v[24:25]
	v_fma_f64 v[24:25], v[90:91], s[34:35], v[30:31]
	v_fma_f64 v[30:31], v[106:107], s[26:27], v[162:163]
	;; [unrolled: 1-line block ×3, first 2 shown]
	v_add_f64 v[168:169], v[168:169], v[172:173]
	v_add_f64 v[22:23], v[20:21], v[22:23]
	v_fma_f64 v[20:21], v[88:89], s[14:15], v[26:27]
	v_add_f64 v[30:31], v[30:31], v[32:33]
	v_add_f64 v[162:163], v[250:251], v[162:163]
	v_fma_f64 v[26:27], v[102:103], s[20:21], v[150:151]
	v_mul_f64 v[32:33], v[110:111], s[30:31]
	v_fma_f64 v[150:151], v[92:93], s[22:23], v[148:149]
	v_fma_f64 v[148:149], v[92:93], s[22:23], -v[148:149]
	v_add_f64 v[28:29], v[28:29], v[30:31]
	v_add_f64 v[158:159], v[158:159], v[162:163]
	v_mul_f64 v[30:31], v[122:123], s[16:17]
	v_fma_f64 v[34:35], v[96:97], s[4:5], v[32:33]
	v_mul_f64 v[162:163], v[118:119], s[30:31]
	v_fma_f64 v[32:33], v[96:97], s[4:5], -v[32:33]
	v_add_f64 v[26:27], v[26:27], v[28:29]
	v_add_f64 v[150:151], v[150:151], v[158:159]
	v_mul_f64 v[28:29], v[232:233], s[28:29]
	v_fma_f64 v[164:165], v[102:103], s[4:5], -v[162:163]
	v_add_f64 v[24:25], v[24:25], v[26:27]
	v_fma_f64 v[26:27], v[108:109], s[14:15], v[30:31]
	v_add_f64 v[34:35], v[34:35], v[150:151]
	v_mul_f64 v[150:151], v[116:117], s[16:17]
	v_add_f64 v[164:165], v[164:165], v[168:169]
	v_fma_f64 v[30:31], v[108:109], s[14:15], -v[30:31]
	v_mul_f64 v[168:169], v[100:101], s[16:17]
	v_add_f64 v[20:21], v[20:21], v[24:25]
	v_fma_f64 v[24:25], v[120:121], s[26:27], v[28:29]
	v_add_f64 v[26:27], v[26:27], v[34:35]
	v_mul_f64 v[34:35], v[114:115], s[28:29]
	v_fma_f64 v[158:159], v[90:91], s[14:15], -v[150:151]
	v_fma_f64 v[28:29], v[120:121], s[26:27], -v[28:29]
	v_add_f64 v[26:27], v[24:25], v[26:27]
	v_fma_f64 v[24:25], v[88:89], s[26:27], -v[34:35]
	v_add_f64 v[158:159], v[158:159], v[164:165]
	v_mul_f64 v[164:165], v[94:95], s[24:25]
	v_mul_f64 v[94:95], v[94:95], s[16:17]
	v_add_f64 v[24:25], v[24:25], v[158:159]
	v_fma_f64 v[158:159], v[86:87], s[20:21], -v[160:161]
	v_mul_f64 v[160:161], v[98:99], s[36:37]
	v_add_f64 v[158:159], v[250:251], v[158:159]
	v_add_f64 v[156:157], v[156:157], v[158:159]
	;; [unrolled: 1-line block ×3, first 2 shown]
	v_fma_f64 v[156:157], v[112:113], s[20:21], v[174:175]
	v_mul_f64 v[174:175], v[124:125], s[36:37]
	v_mul_f64 v[124:125], v[124:125], s[18:19]
	v_add_f64 v[32:33], v[32:33], v[148:149]
	v_add_f64 v[156:157], v[248:249], v[156:157]
	v_fma_f64 v[148:149], v[104:105], s[22:23], v[166:167]
	v_fma_f64 v[166:167], v[84:85], s[22:23], v[164:165]
	v_fma_f64 v[176:177], v[104:105], s[34:35], -v[174:175]
	v_fma_f64 v[164:165], v[84:85], s[22:23], -v[164:165]
	v_add_f64 v[30:31], v[30:31], v[32:33]
	v_fma_f64 v[32:33], v[90:91], s[14:15], v[150:151]
	v_fma_f64 v[150:151], v[106:107], s[34:35], v[170:171]
	;; [unrolled: 1-line block ×3, first 2 shown]
	v_add_f64 v[176:177], v[176:177], v[180:181]
	v_add_f64 v[30:31], v[28:29], v[30:31]
	v_fma_f64 v[28:29], v[88:89], s[26:27], v[34:35]
	v_add_f64 v[150:151], v[150:151], v[156:157]
	v_add_f64 v[170:171], v[250:251], v[170:171]
	v_fma_f64 v[34:35], v[102:103], s[4:5], v[162:163]
	v_mul_f64 v[156:157], v[110:111], s[40:41]
	v_fma_f64 v[162:163], v[92:93], s[34:35], v[160:161]
	v_fma_f64 v[160:161], v[92:93], s[34:35], -v[160:161]
	v_mul_f64 v[110:111], v[110:111], s[24:25]
	v_add_f64 v[148:149], v[148:149], v[150:151]
	v_add_f64 v[166:167], v[166:167], v[170:171]
	v_mul_f64 v[150:151], v[122:123], s[38:39]
	v_fma_f64 v[158:159], v[96:97], s[26:27], v[156:157]
	v_mul_f64 v[170:171], v[118:119], s[40:41]
	v_fma_f64 v[156:157], v[96:97], s[26:27], -v[156:157]
	v_mul_f64 v[122:123], v[122:123], s[28:29]
	v_mul_f64 v[118:119], v[118:119], s[24:25]
	v_add_f64 v[34:35], v[34:35], v[148:149]
	v_add_f64 v[162:163], v[162:163], v[166:167]
	v_mul_f64 v[148:149], v[232:233], s[30:31]
	v_fma_f64 v[172:173], v[102:103], s[26:27], -v[170:171]
	v_add_f64 v[32:33], v[32:33], v[34:35]
	v_fma_f64 v[34:35], v[108:109], s[20:21], v[150:151]
	v_add_f64 v[158:159], v[158:159], v[162:163]
	v_mul_f64 v[162:163], v[116:117], s[38:39]
	v_add_f64 v[172:173], v[172:173], v[176:177]
	v_fma_f64 v[150:151], v[108:109], s[20:21], -v[150:151]
	v_mul_f64 v[116:117], v[116:117], s[28:29]
	v_add_f64 v[28:29], v[28:29], v[32:33]
	v_fma_f64 v[32:33], v[120:121], s[4:5], v[148:149]
	v_add_f64 v[34:35], v[34:35], v[158:159]
	v_mul_f64 v[158:159], v[114:115], s[30:31]
	v_fma_f64 v[166:167], v[90:91], s[20:21], -v[162:163]
	v_fma_f64 v[148:149], v[120:121], s[4:5], -v[148:149]
	v_mul_f64 v[114:115], v[114:115], s[36:37]
	v_add_f64 v[34:35], v[32:33], v[34:35]
	v_fma_f64 v[32:33], v[88:89], s[4:5], -v[158:159]
	v_add_f64 v[166:167], v[166:167], v[172:173]
	v_add_f64 v[32:33], v[32:33], v[166:167]
	v_fma_f64 v[166:167], v[86:87], s[14:15], -v[168:169]
	v_add_f64 v[166:167], v[250:251], v[166:167]
	v_add_f64 v[164:165], v[164:165], v[166:167]
	v_mul_f64 v[166:167], v[234:235], s[6:7]
	v_add_f64 v[160:161], v[160:161], v[164:165]
	v_mul_f64 v[164:165], v[100:101], s[6:7]
	v_fma_f64 v[168:169], v[112:113], s[4:5], -v[166:167]
	v_add_f64 v[156:157], v[156:157], v[160:161]
	v_fma_f64 v[160:161], v[106:107], s[22:23], v[178:179]
	v_fma_f64 v[100:101], v[86:87], s[4:5], v[164:165]
	v_fma_f64 v[86:87], v[86:87], s[4:5], -v[164:165]
	v_add_f64 v[168:169], v[248:249], v[168:169]
	v_add_f64 v[150:151], v[150:151], v[156:157]
	v_fma_f64 v[156:157], v[102:103], s[26:27], v[170:171]
	v_add_f64 v[100:101], v[250:251], v[100:101]
	v_add_f64 v[86:87], v[250:251], v[86:87]
	;; [unrolled: 1-line block ×3, first 2 shown]
	v_fma_f64 v[150:151], v[90:91], s[20:21], v[162:163]
	v_fma_f64 v[162:163], v[112:113], s[14:15], v[182:183]
	;; [unrolled: 1-line block ×4, first 2 shown]
	v_add_f64 v[162:163], v[248:249], v[162:163]
	v_add_f64 v[160:161], v[160:161], v[162:163]
	v_fma_f64 v[162:163], v[84:85], s[14:15], v[94:95]
	v_fma_f64 v[84:85], v[84:85], s[14:15], -v[94:95]
	v_fma_f64 v[94:95], v[106:107], s[14:15], v[126:127]
	v_add_f64 v[158:159], v[158:159], v[160:161]
	v_mul_f64 v[160:161], v[98:99], s[18:19]
	v_add_f64 v[84:85], v[84:85], v[86:87]
	v_add_f64 v[100:101], v[162:163], v[100:101]
	v_fma_f64 v[162:163], v[106:107], s[14:15], -v[126:127]
	v_add_f64 v[156:157], v[156:157], v[158:159]
	v_fma_f64 v[98:99], v[92:93], s[20:21], v[160:161]
	v_fma_f64 v[92:93], v[92:93], s[20:21], -v[160:161]
	v_fma_f64 v[158:159], v[96:97], s[22:23], v[110:111]
	v_fma_f64 v[96:97], v[96:97], s[22:23], -v[110:111]
	v_add_f64 v[162:163], v[162:163], v[168:169]
	v_add_f64 v[150:151], v[150:151], v[156:157]
	;; [unrolled: 1-line block ×4, first 2 shown]
	v_fma_f64 v[156:157], v[108:109], s[26:27], v[122:123]
	v_fma_f64 v[108:109], v[108:109], s[26:27], -v[122:123]
	v_fma_f64 v[92:93], v[104:105], s[20:21], v[124:125]
	v_add_f64 v[236:237], v[148:149], v[150:151]
	v_mul_f64 v[148:149], v[232:233], s[36:37]
	v_add_f64 v[84:85], v[96:97], v[84:85]
	v_fma_f64 v[96:97], v[112:113], s[4:5], v[166:167]
	v_add_f64 v[98:99], v[158:159], v[98:99]
	v_fma_f64 v[158:159], v[104:105], s[20:21], -v[124:125]
	v_fma_f64 v[150:151], v[120:121], s[34:35], v[148:149]
	v_fma_f64 v[120:121], v[120:121], s[34:35], -v[148:149]
	v_add_f64 v[96:97], v[248:249], v[96:97]
	v_add_f64 v[98:99], v[156:157], v[98:99]
	;; [unrolled: 1-line block ×3, first 2 shown]
	v_fma_f64 v[156:157], v[102:103], s[22:23], -v[118:119]
	v_add_f64 v[158:159], v[158:159], v[162:163]
	v_add_f64 v[94:95], v[94:95], v[96:97]
	;; [unrolled: 1-line block ×3, first 2 shown]
	v_fma_f64 v[98:99], v[88:89], s[34:35], -v[114:115]
	v_fma_f64 v[150:151], v[90:91], s[26:27], -v[116:117]
	v_add_f64 v[86:87], v[120:121], v[84:85]
	v_fma_f64 v[84:85], v[88:89], s[34:35], v[114:115]
	v_fma_f64 v[88:89], v[90:91], s[26:27], v[116:117]
	;; [unrolled: 1-line block ×3, first 2 shown]
	v_add_f64 v[92:93], v[92:93], v[94:95]
	v_add_f64 v[156:157], v[156:157], v[158:159]
	v_add_f64 v[90:91], v[90:91], v[92:93]
	v_add_f64 v[150:151], v[150:151], v[156:157]
	v_add_f64 v[88:89], v[88:89], v[90:91]
	v_add_f64 v[98:99], v[98:99], v[150:151]
	v_add_f64 v[84:85], v[84:85], v[88:89]
	ds_write_b128 v36, v[52:55]
	ds_write_b128 v36, v[84:87] offset:64
	ds_write_b128 v36, v[236:239] offset:128
	;; [unrolled: 1-line block ×12, first 2 shown]
.LBB0_29:
	s_or_b64 exec, exec, s[48:49]
	s_waitcnt lgkmcnt(0)
	; wave barrier
	s_waitcnt lgkmcnt(0)
	ds_read_b128 v[0:3], v196 offset:4992
	ds_read_b128 v[4:7], v196 offset:5824
	;; [unrolled: 1-line block ×10, first 2 shown]
	s_waitcnt lgkmcnt(5)
	v_mul_f64 v[48:49], v[146:147], v[18:19]
	v_mul_f64 v[50:51], v[146:147], v[16:17]
	ds_read_b128 v[40:43], v196 offset:8320
	ds_read_b128 v[44:47], v196 offset:9152
	s_waitcnt lgkmcnt(3)
	v_mul_f64 v[56:57], v[134:135], v[34:35]
	v_mul_f64 v[58:59], v[134:135], v[32:33]
	;; [unrolled: 1-line block ×5, first 2 shown]
	v_fma_f64 v[48:49], v[144:145], v[16:17], v[48:49]
	v_mul_f64 v[16:17], v[146:147], v[24:25]
	s_waitcnt lgkmcnt(1)
	v_mul_f64 v[62:63], v[134:135], v[40:41]
	v_fma_f64 v[32:33], v[132:133], v[32:33], v[56:57]
	v_fma_f64 v[34:35], v[132:133], v[34:35], -v[58:59]
	v_fma_f64 v[56:57], v[144:145], v[24:25], v[60:61]
	v_mul_f64 v[24:25], v[138:139], v[6:7]
	v_mul_f64 v[58:59], v[138:139], v[4:5]
	v_fma_f64 v[50:51], v[144:145], v[18:19], -v[50:51]
	v_fma_f64 v[60:61], v[144:145], v[26:27], -v[16:17]
	v_mul_f64 v[26:27], v[134:135], v[42:43]
	v_fma_f64 v[52:53], v[136:137], v[0:1], v[52:53]
	v_fma_f64 v[54:55], v[136:137], v[2:3], -v[54:55]
	ds_read_b128 v[0:3], v196 offset:12480
	ds_read_b128 v[16:19], v196 offset:11648
	v_fma_f64 v[42:43], v[132:133], v[42:43], -v[62:63]
	v_mul_f64 v[62:63], v[130:131], v[14:15]
	v_mul_f64 v[64:65], v[130:131], v[10:11]
	;; [unrolled: 1-line block ×3, first 2 shown]
	s_waitcnt lgkmcnt(1)
	v_mul_f64 v[72:73], v[154:155], v[2:3]
	v_mul_f64 v[74:75], v[154:155], v[0:1]
	v_fma_f64 v[66:67], v[136:137], v[4:5], v[24:25]
	v_fma_f64 v[58:59], v[136:137], v[6:7], -v[58:59]
	v_fma_f64 v[40:41], v[132:133], v[40:41], v[26:27]
	ds_read_b128 v[4:7], v196 offset:13312
	ds_read_b128 v[24:27], v196 offset:14144
	v_mul_f64 v[70:71], v[130:131], v[12:13]
	v_fma_f64 v[62:63], v[128:129], v[12:13], v[62:63]
	v_fma_f64 v[64:65], v[128:129], v[8:9], v[64:65]
	s_waitcnt lgkmcnt(1)
	v_mul_f64 v[12:13], v[154:155], v[6:7]
	v_fma_f64 v[68:69], v[128:129], v[10:11], -v[68:69]
	ds_read_b128 v[8:11], v196 offset:14976
	v_fma_f64 v[72:73], v[152:153], v[0:1], v[72:73]
	v_fma_f64 v[74:75], v[152:153], v[2:3], -v[74:75]
	ds_read_b128 v[0:3], v196 offset:15808
	v_fma_f64 v[70:71], v[128:129], v[14:15], -v[70:71]
	v_mul_f64 v[14:15], v[154:155], v[4:5]
	s_waitcnt lgkmcnt(1)
	v_mul_f64 v[76:77], v[142:143], v[10:11]
	v_fma_f64 v[78:79], v[152:153], v[4:5], v[12:13]
	v_mul_f64 v[4:5], v[142:143], v[8:9]
	s_waitcnt lgkmcnt(0)
	v_mul_f64 v[12:13], v[142:143], v[0:1]
	buffer_load_dword v88, off, s[56:59], 0 offset:508 ; 4-byte Folded Reload
	buffer_load_dword v89, off, s[56:59], 0 offset:512 ; 4-byte Folded Reload
	;; [unrolled: 1-line block ×4, first 2 shown]
	s_mov_b32 s4, 0x37e14327
	s_mov_b32 s14, 0xe976ee23
	v_fma_f64 v[80:81], v[152:153], v[6:7], -v[14:15]
	v_fma_f64 v[14:15], v[140:141], v[8:9], v[76:77]
	v_mul_f64 v[6:7], v[142:143], v[2:3]
	v_fma_f64 v[76:77], v[140:141], v[10:11], -v[4:5]
	v_fma_f64 v[84:85], v[140:141], v[2:3], -v[12:13]
	buffer_load_dword v10, off, s[56:59], 0 offset:492 ; 4-byte Folded Reload
	buffer_load_dword v11, off, s[56:59], 0 offset:496 ; 4-byte Folded Reload
	;; [unrolled: 1-line block ×14, first 2 shown]
	s_mov_b32 s6, 0x429ad128
	v_fma_f64 v[82:83], v[140:141], v[0:1], v[6:7]
	s_mov_b32 s5, 0x3fe948f6
	s_mov_b32 s15, 0x3fe11646
	;; [unrolled: 1-line block ×15, first 2 shown]
	s_waitcnt vmcnt(14)
	v_mul_f64 v[2:3], v[90:91], v[30:31]
	v_mul_f64 v[4:5], v[90:91], v[28:29]
	v_fma_f64 v[86:87], v[88:89], v[28:29], v[2:3]
	v_fma_f64 v[88:89], v[88:89], v[30:31], -v[4:5]
	s_waitcnt vmcnt(10)
	v_mul_f64 v[6:7], v[12:13], v[38:39]
	s_waitcnt vmcnt(0)
	v_mul_f64 v[28:29], v[102:103], v[18:19]
	v_mul_f64 v[30:31], v[102:103], v[16:17]
	buffer_load_dword v102, off, s[56:59], 0 offset:524 ; 4-byte Folded Reload
	buffer_load_dword v103, off, s[56:59], 0 offset:528 ; 4-byte Folded Reload
	;; [unrolled: 1-line block ×4, first 2 shown]
	v_mul_f64 v[8:9], v[12:13], v[36:37]
	v_mul_f64 v[12:13], v[98:99], v[44:45]
	v_mad_u64_u32 v[0:1], s[2:3], s10, v106, 0
	v_fma_f64 v[90:91], v[10:11], v[36:37], v[6:7]
	s_mov_b32 s2, 0x36b3c0b5
	v_fma_f64 v[18:19], v[100:101], v[18:19], -v[30:31]
	v_add_f64 v[30:31], v[50:51], -v[76:77]
	v_fma_f64 v[92:93], v[10:11], v[38:39], -v[8:9]
	v_mul_f64 v[10:11], v[98:99], v[46:47]
	ds_read_b128 v[2:5], v196
	ds_read_b128 v[6:9], v196 offset:832
	v_fma_f64 v[98:99], v[100:101], v[16:17], v[28:29]
	v_add_f64 v[28:29], v[50:51], v[76:77]
	v_add_f64 v[50:51], v[34:35], v[68:69]
	v_add_f64 v[34:35], v[68:69], -v[34:35]
	s_mov_b32 s3, 0x3fac98ee
	v_fma_f64 v[94:95], v[96:97], v[44:45], v[10:11]
	v_fma_f64 v[96:97], v[96:97], v[46:47], -v[12:13]
	ds_read_b128 v[10:13], v196 offset:16640
	buffer_load_dword v107, off, s[56:59], 0 offset:444 ; 4-byte Folded Reload
	buffer_load_dword v108, off, s[56:59], 0 offset:448 ; 4-byte Folded Reload
	;; [unrolled: 1-line block ×4, first 2 shown]
	v_add_f64 v[44:45], v[52:53], -v[72:73]
	v_add_f64 v[46:47], v[54:55], -v[74:75]
	s_waitcnt lgkmcnt(0)
	; wave barrier
	s_waitcnt vmcnt(4) lgkmcnt(0)
	v_mul_f64 v[36:37], v[104:105], v[26:27]
	v_mul_f64 v[38:39], v[104:105], v[24:25]
	v_add_f64 v[104:105], v[34:35], -v[46:47]
	v_fma_f64 v[100:101], v[102:103], v[24:25], v[36:37]
	v_fma_f64 v[102:103], v[102:103], v[26:27], -v[38:39]
	v_add_f64 v[26:27], v[48:49], v[14:15]
	v_add_f64 v[36:37], v[52:53], v[72:73]
	;; [unrolled: 1-line block ×3, first 2 shown]
	v_add_f64 v[14:15], v[48:49], -v[14:15]
	v_add_f64 v[48:49], v[32:33], v[64:65]
	v_add_f64 v[32:33], v[64:65], -v[32:33]
	v_add_f64 v[74:75], v[34:35], v[46:47]
	v_add_f64 v[46:47], v[46:47], -v[30:31]
	v_add_f64 v[34:35], v[30:31], -v[34:35]
	v_add_f64 v[52:53], v[36:37], v[26:27]
	v_add_f64 v[54:55], v[38:39], v[28:29]
	v_add_f64 v[64:65], v[36:37], -v[26:27]
	v_add_f64 v[68:69], v[38:39], -v[28:29]
	;; [unrolled: 1-line block ×6, first 2 shown]
	v_add_f64 v[72:73], v[32:33], v[44:45]
	v_add_f64 v[76:77], v[32:33], -v[44:45]
	v_add_f64 v[48:49], v[48:49], v[52:53]
	v_add_f64 v[50:51], v[50:51], v[54:55]
	v_add_f64 v[32:33], v[14:15], -v[32:33]
	v_add_f64 v[44:45], v[44:45], -v[14:15]
	v_add_f64 v[30:31], v[74:75], v[30:31]
	v_mul_f64 v[28:29], v[28:29], s[4:5]
	v_add_f64 v[14:15], v[72:73], v[14:15]
	v_mul_f64 v[52:53], v[36:37], s[2:3]
	v_add_f64 v[2:3], v[2:3], v[48:49]
	v_add_f64 v[4:5], v[4:5], v[50:51]
	v_mul_f64 v[54:55], v[38:39], s[2:3]
	v_mul_f64 v[72:73], v[76:77], s[14:15]
	;; [unrolled: 1-line block ×6, first 2 shown]
	v_fma_f64 v[48:49], v[48:49], s[16:17], v[2:3]
	v_fma_f64 v[50:51], v[50:51], s[16:17], v[4:5]
	;; [unrolled: 1-line block ×3, first 2 shown]
	v_fma_f64 v[52:53], v[64:65], s[18:19], -v[52:53]
	v_fma_f64 v[54:55], v[68:69], s[18:19], -v[54:55]
	;; [unrolled: 1-line block ×3, first 2 shown]
	v_fma_f64 v[68:69], v[34:35], s[22:23], v[74:75]
	v_fma_f64 v[44:45], v[44:45], s[6:7], -v[72:73]
	v_fma_f64 v[46:47], v[46:47], s[6:7], -v[74:75]
	;; [unrolled: 1-line block ×3, first 2 shown]
	s_waitcnt vmcnt(0)
	v_mul_f64 v[24:25], v[109:110], v[10:11]
	v_fma_f64 v[36:37], v[36:37], s[2:3], v[26:27]
	v_fma_f64 v[26:27], v[64:65], s[20:21], -v[26:27]
	v_fma_f64 v[64:65], v[32:33], s[22:23], v[72:73]
	v_fma_f64 v[32:33], v[32:33], s[26:27], -v[76:77]
	v_add_f64 v[38:39], v[38:39], v[50:51]
	v_add_f64 v[52:53], v[52:53], v[48:49]
	;; [unrolled: 1-line block ×4, first 2 shown]
	v_fma_f64 v[68:69], v[30:31], s[24:25], v[68:69]
	v_fma_f64 v[34:35], v[30:31], s[24:25], v[34:35]
	;; [unrolled: 1-line block ×4, first 2 shown]
	v_mul_f64 v[16:17], v[109:110], v[12:13]
	v_add_f64 v[36:37], v[36:37], v[48:49]
	v_add_f64 v[48:49], v[26:27], v[48:49]
	v_fma_f64 v[72:73], v[14:15], s[24:25], v[32:33]
	v_fma_f64 v[76:77], v[107:108], v[12:13], -v[24:25]
	v_add_f64 v[44:45], v[56:57], v[82:83]
	v_add_f64 v[24:25], v[52:53], -v[28:29]
	v_add_f64 v[26:27], v[30:31], v[54:55]
	v_add_f64 v[28:29], v[28:29], v[52:53]
	v_add_f64 v[30:31], v[54:55], -v[30:31]
	v_add_f64 v[46:47], v[60:61], v[84:85]
	v_add_f64 v[52:53], v[66:67], v[78:79]
	;; [unrolled: 1-line block ×3, first 2 shown]
	v_fma_f64 v[64:65], v[14:15], s[24:25], v[64:65]
	v_fma_f64 v[74:75], v[107:108], v[10:11], v[16:17]
	v_add_f64 v[14:15], v[34:35], v[48:49]
	v_add_f64 v[16:17], v[50:51], -v[72:73]
	v_add_f64 v[32:33], v[48:49], -v[34:35]
	v_add_f64 v[34:35], v[72:73], v[50:51]
	v_add_f64 v[48:49], v[56:57], -v[82:83]
	v_add_f64 v[50:51], v[60:61], -v[84:85]
	;; [unrolled: 1-line block ×4, first 2 shown]
	v_add_f64 v[60:61], v[40:41], v[62:63]
	v_add_f64 v[66:67], v[42:43], v[70:71]
	v_add_f64 v[40:41], v[62:63], -v[40:41]
	v_add_f64 v[42:43], v[70:71], -v[42:43]
	v_add_f64 v[62:63], v[52:53], v[44:45]
	v_add_f64 v[70:71], v[54:55], v[46:47]
	v_add_f64 v[72:73], v[52:53], -v[44:45]
	v_add_f64 v[78:79], v[54:55], -v[46:47]
	;; [unrolled: 1-line block ×6, first 2 shown]
	v_add_f64 v[80:81], v[40:41], v[56:57]
	v_add_f64 v[82:83], v[42:43], v[58:59]
	v_add_f64 v[84:85], v[40:41], -v[56:57]
	v_add_f64 v[104:105], v[42:43], -v[58:59]
	v_add_f64 v[60:61], v[60:61], v[62:63]
	v_add_f64 v[62:63], v[66:67], v[70:71]
	v_add_f64 v[56:57], v[56:57], -v[48:49]
	v_add_f64 v[58:59], v[58:59], -v[50:51]
	;; [unrolled: 1-line block ×4, first 2 shown]
	v_add_f64 v[48:49], v[80:81], v[48:49]
	v_add_f64 v[50:51], v[82:83], v[50:51]
	;; [unrolled: 1-line block ×4, first 2 shown]
	v_mul_f64 v[44:45], v[44:45], s[4:5]
	v_mul_f64 v[46:47], v[46:47], s[4:5]
	v_mul_f64 v[66:67], v[52:53], s[2:3]
	v_mul_f64 v[70:71], v[54:55], s[2:3]
	v_mul_f64 v[80:81], v[84:85], s[14:15]
	v_mul_f64 v[82:83], v[104:105], s[14:15]
	v_mul_f64 v[84:85], v[56:57], s[6:7]
	v_mul_f64 v[104:105], v[58:59], s[6:7]
	v_fma_f64 v[60:61], v[60:61], s[16:17], v[6:7]
	v_fma_f64 v[62:63], v[62:63], s[16:17], v[8:9]
	;; [unrolled: 1-line block ×4, first 2 shown]
	v_fma_f64 v[66:67], v[72:73], s[18:19], -v[66:67]
	v_fma_f64 v[70:71], v[78:79], s[18:19], -v[70:71]
	;; [unrolled: 1-line block ×4, first 2 shown]
	v_fma_f64 v[72:73], v[40:41], s[22:23], v[80:81]
	v_fma_f64 v[78:79], v[42:43], s[22:23], v[82:83]
	v_fma_f64 v[56:57], v[56:57], s[6:7], -v[80:81]
	v_fma_f64 v[58:59], v[58:59], s[6:7], -v[82:83]
	;; [unrolled: 1-line block ×4, first 2 shown]
	v_add_f64 v[80:81], v[52:53], v[60:61]
	v_add_f64 v[82:83], v[54:55], v[62:63]
	;; [unrolled: 1-line block ×6, first 2 shown]
	v_fma_f64 v[66:67], v[50:51], s[24:25], v[78:79]
	v_fma_f64 v[70:71], v[48:49], s[24:25], v[72:73]
	;; [unrolled: 1-line block ×6, first 2 shown]
	v_add_f64 v[12:13], v[38:39], -v[64:65]
	v_add_f64 v[38:39], v[64:65], v[38:39]
	v_add_f64 v[64:65], v[86:87], -v[74:75]
	v_add_f64 v[10:11], v[68:69], v[36:37]
	v_add_f64 v[44:45], v[72:73], v[60:61]
	v_add_f64 v[46:47], v[62:63], -v[78:79]
	v_add_f64 v[48:49], v[52:53], -v[58:59]
	v_add_f64 v[50:51], v[56:57], v[54:55]
	v_add_f64 v[52:53], v[58:59], v[52:53]
	v_add_f64 v[54:55], v[54:55], -v[56:57]
	v_add_f64 v[56:57], v[60:61], -v[72:73]
	v_add_f64 v[58:59], v[78:79], v[62:63]
	v_add_f64 v[60:61], v[86:87], v[74:75]
	;; [unrolled: 1-line block ×5, first 2 shown]
	v_add_f64 v[36:37], v[36:37], -v[68:69]
	v_add_f64 v[68:69], v[88:89], -v[76:77]
	;; [unrolled: 1-line block ×4, first 2 shown]
	v_add_f64 v[84:85], v[94:95], v[98:99]
	v_add_f64 v[86:87], v[96:97], v[18:19]
	;; [unrolled: 1-line block ×4, first 2 shown]
	v_add_f64 v[88:89], v[98:99], -v[94:95]
	v_add_f64 v[18:19], v[18:19], -v[96:97]
	;; [unrolled: 1-line block ×8, first 2 shown]
	v_add_f64 v[84:85], v[84:85], v[90:91]
	v_add_f64 v[86:87], v[86:87], v[92:93]
	;; [unrolled: 1-line block ×4, first 2 shown]
	v_add_f64 v[102:103], v[88:89], -v[76:77]
	v_add_f64 v[104:105], v[18:19], -v[78:79]
	;; [unrolled: 1-line block ×4, first 2 shown]
	v_add_f64 v[18:19], v[20:21], v[84:85]
	v_add_f64 v[20:21], v[22:23], v[86:87]
	v_mul_f64 v[22:23], v[60:61], s[4:5]
	v_mul_f64 v[60:61], v[62:63], s[4:5]
	v_mul_f64 v[62:63], v[72:73], s[2:3]
	v_add_f64 v[88:89], v[64:65], -v[88:89]
	v_add_f64 v[64:65], v[98:99], v[64:65]
	v_mul_f64 v[92:93], v[74:75], s[2:3]
	v_mul_f64 v[98:99], v[102:103], s[14:15]
	;; [unrolled: 1-line block ×3, first 2 shown]
	v_fma_f64 v[84:85], v[84:85], s[16:17], v[18:19]
	v_fma_f64 v[86:87], v[86:87], s[16:17], v[20:21]
	;; [unrolled: 1-line block ×4, first 2 shown]
	v_fma_f64 v[62:63], v[94:95], s[18:19], -v[62:63]
	v_fma_f64 v[22:23], v[94:95], s[20:21], -v[22:23]
	;; [unrolled: 1-line block ×3, first 2 shown]
	v_add_f64 v[40:41], v[66:67], v[80:81]
	v_add_f64 v[42:43], v[82:83], -v[70:71]
	v_fma_f64 v[94:95], v[88:89], s[22:23], v[98:99]
	v_fma_f64 v[76:77], v[76:77], s[6:7], -v[98:99]
	v_fma_f64 v[88:89], v[88:89], s[26:27], -v[102:103]
	v_add_f64 v[98:99], v[72:73], v[84:85]
	v_add_f64 v[102:103], v[62:63], v[84:85]
	;; [unrolled: 1-line block ×4, first 2 shown]
	v_add_f64 v[60:61], v[80:81], -v[66:67]
	v_add_f64 v[62:63], v[70:71], v[82:83]
	ds_write_b128 v196, v[2:5]
	ds_write_b128 v196, v[10:13] offset:832
	ds_write_b128 v196, v[14:17] offset:1664
	;; [unrolled: 1-line block ×13, first 2 shown]
	buffer_load_dword v2, off, s[56:59], 0 offset:540 ; 4-byte Folded Reload
	v_add_f64 v[78:79], v[78:79], -v[68:69]
	v_add_f64 v[68:69], v[100:101], v[68:69]
	v_mul_f64 v[100:101], v[104:105], s[14:15]
	v_fma_f64 v[92:93], v[96:97], s[18:19], -v[92:93]
	v_fma_f64 v[94:95], v[64:65], s[24:25], v[94:95]
	v_fma_f64 v[88:89], v[64:65], s[24:25], v[88:89]
	s_mov_b32 s2, 0xe8584caa
	s_mov_b32 s3, 0xbfebb67a
	v_mul_f64 v[104:105], v[78:79], s[6:7]
	s_mov_b32 s5, 0x3febb67a
	v_fma_f64 v[96:97], v[90:91], s[22:23], v[100:101]
	v_fma_f64 v[78:79], v[78:79], s[6:7], -v[100:101]
	v_add_f64 v[100:101], v[74:75], v[86:87]
	v_add_f64 v[92:93], v[92:93], v[86:87]
	v_add_f64 v[70:71], v[84:85], -v[88:89]
	v_add_f64 v[82:83], v[88:89], v[84:85]
	v_fma_f64 v[90:91], v[90:91], s[26:27], -v[104:105]
	s_mov_b32 s4, s2
	v_fma_f64 v[86:87], v[68:69], s[24:25], v[96:97]
	v_fma_f64 v[78:79], v[68:69], s[24:25], v[78:79]
	;; [unrolled: 1-line block ×3, first 2 shown]
	v_add_f64 v[66:67], v[100:101], -v[94:95]
	s_mul_hi_u32 s7, s8, 0xfffffe12
	s_mul_i32 s6, s9, 0xfffffe12
	v_fma_f64 v[90:91], v[68:69], s[24:25], v[90:91]
	s_sub_i32 s7, s7, s8
	v_add_f64 v[64:65], v[86:87], v[98:99]
	v_add_f64 v[72:73], v[102:103], -v[78:79]
	v_add_f64 v[74:75], v[96:97], v[92:93]
	v_add_f64 v[76:77], v[78:79], v[102:103]
	v_add_f64 v[78:79], v[92:93], -v[96:97]
	v_add_f64 v[84:85], v[98:99], -v[86:87]
	v_add_f64 v[68:69], v[90:91], v[22:23]
	v_add_f64 v[80:81], v[22:23], -v[90:91]
	v_add_f64 v[86:87], v[94:95], v[100:101]
	s_waitcnt vmcnt(0)
	ds_write_b128 v2, v[18:21] offset:11648
	ds_write_b128 v2, v[64:67] offset:12480
	;; [unrolled: 1-line block ×7, first 2 shown]
	s_waitcnt lgkmcnt(0)
	; wave barrier
	s_waitcnt lgkmcnt(0)
	ds_read_b128 v[2:5], v196 offset:5824
	ds_read_b128 v[6:9], v196
	ds_read_b128 v[10:13], v196 offset:832
	ds_read_b128 v[14:17], v196 offset:11648
	;; [unrolled: 1-line block ×16, first 2 shown]
	buffer_load_dword v98, off, s[56:59], 0 offset:548 ; 4-byte Folded Reload
	buffer_load_dword v99, off, s[56:59], 0 offset:552 ; 4-byte Folded Reload
	;; [unrolled: 1-line block ×4, first 2 shown]
	ds_read_b128 v[74:77], v196 offset:9984
	ds_read_b128 v[78:81], v196 offset:10816
	s_waitcnt lgkmcnt(14)
	v_mul_f64 v[96:97], v[190:191], v[22:23]
	v_mul_f64 v[94:95], v[190:191], v[24:25]
	s_add_i32 s7, s7, s6
	s_mul_i32 s6, s8, 0xfffffe12
	s_lshl_b64 s[6:7], s[6:7], 4
	v_fma_f64 v[24:25], v[188:189], v[24:25], -v[96:97]
	s_waitcnt lgkmcnt(8)
	v_mul_f64 v[96:97], v[206:207], v[48:49]
	v_fma_f64 v[22:23], v[188:189], v[22:23], v[94:95]
	v_mul_f64 v[94:95], v[242:243], v[38:39]
	s_waitcnt vmcnt(0)
	v_mul_f64 v[86:87], v[100:101], v[4:5]
	v_mul_f64 v[88:89], v[100:101], v[2:3]
	buffer_load_dword v100, off, s[56:59], 0 offset:564 ; 4-byte Folded Reload
	buffer_load_dword v101, off, s[56:59], 0 offset:568 ; 4-byte Folded Reload
	;; [unrolled: 1-line block ×4, first 2 shown]
	ds_read_b128 v[82:85], v196 offset:16640
	v_fma_f64 v[86:87], v[98:99], v[2:3], v[86:87]
	v_fma_f64 v[4:5], v[98:99], v[4:5], -v[88:89]
	s_waitcnt vmcnt(0)
	v_mul_f64 v[90:91], v[102:103], v[16:17]
	v_mul_f64 v[92:93], v[102:103], v[14:15]
	buffer_load_dword v102, off, s[56:59], 0 offset:580 ; 4-byte Folded Reload
	buffer_load_dword v103, off, s[56:59], 0 offset:584 ; 4-byte Folded Reload
	;; [unrolled: 1-line block ×4, first 2 shown]
	v_fma_f64 v[14:15], v[100:101], v[14:15], v[90:91]
	v_fma_f64 v[16:17], v[100:101], v[16:17], -v[92:93]
	v_mul_f64 v[90:91], v[194:195], v[28:29]
	v_mul_f64 v[92:93], v[194:195], v[26:27]
	v_add_f64 v[98:99], v[4:5], -v[16:17]
	v_fma_f64 v[90:91], v[192:193], v[26:27], v[90:91]
	v_fma_f64 v[26:27], v[192:193], v[28:29], -v[92:93]
	v_mul_f64 v[28:29], v[202:203], v[44:45]
	s_waitcnt lgkmcnt(8)
	v_mul_f64 v[92:93], v[210:211], v[50:51]
	s_waitcnt vmcnt(0)
	v_mul_f64 v[88:89], v[104:105], v[18:19]
	v_mul_f64 v[2:3], v[104:105], v[20:21]
	v_fma_f64 v[20:21], v[102:103], v[20:21], -v[88:89]
	v_mul_f64 v[88:89], v[206:207], v[46:47]
	v_fma_f64 v[18:19], v[102:103], v[18:19], v[2:3]
	v_mul_f64 v[2:3], v[242:243], v[40:41]
	v_fma_f64 v[46:47], v[204:205], v[46:47], v[96:97]
	s_waitcnt lgkmcnt(2)
	v_mul_f64 v[96:97], v[222:223], v[76:77]
	v_fma_f64 v[40:41], v[240:241], v[40:41], -v[94:95]
	v_mul_f64 v[94:95], v[214:215], v[62:63]
	v_fma_f64 v[48:49], v[204:205], v[48:49], -v[88:89]
	v_mul_f64 v[88:89], v[210:211], v[52:53]
	v_fma_f64 v[38:39], v[240:241], v[38:39], v[2:3]
	v_mul_f64 v[2:3], v[202:203], v[42:43]
	v_fma_f64 v[42:43], v[200:201], v[42:43], v[28:29]
	v_mul_f64 v[28:29], v[214:215], v[64:65]
	v_fma_f64 v[52:53], v[208:209], v[52:53], -v[92:93]
	v_fma_f64 v[92:93], v[220:221], v[74:75], v[96:97]
	v_fma_f64 v[64:65], v[212:213], v[64:65], -v[94:95]
	v_fma_f64 v[50:51], v[208:209], v[50:51], v[88:89]
	v_mul_f64 v[88:89], v[218:219], v[68:69]
	v_fma_f64 v[44:45], v[200:201], v[44:45], -v[2:3]
	v_mul_f64 v[2:3], v[222:223], v[74:75]
	v_fma_f64 v[62:63], v[212:213], v[62:63], v[28:29]
	v_mul_f64 v[28:29], v[218:219], v[66:67]
	v_add_f64 v[74:75], v[86:87], v[14:15]
	s_waitcnt lgkmcnt(0)
	v_mul_f64 v[94:95], v[230:231], v[84:85]
	v_mul_f64 v[96:97], v[230:231], v[82:83]
	v_fma_f64 v[88:89], v[216:217], v[66:67], v[88:89]
	v_mul_f64 v[66:67], v[226:227], v[78:79]
	v_fma_f64 v[76:77], v[220:221], v[76:77], -v[2:3]
	v_mul_f64 v[2:3], v[226:227], v[80:81]
	v_fma_f64 v[68:69], v[216:217], v[68:69], -v[28:29]
	v_add_f64 v[28:29], v[6:7], v[86:87]
	v_fma_f64 v[74:75], v[74:75], -0.5, v[6:7]
	v_fma_f64 v[82:83], v[228:229], v[82:83], v[94:95]
	v_add_f64 v[86:87], v[86:87], -v[14:15]
	v_fma_f64 v[80:81], v[224:225], v[80:81], -v[66:67]
	v_add_f64 v[66:67], v[4:5], v[16:17]
	v_fma_f64 v[78:79], v[224:225], v[78:79], v[2:3]
	v_add_f64 v[4:5], v[8:9], v[4:5]
	v_add_f64 v[2:3], v[28:29], v[14:15]
	v_fma_f64 v[6:7], v[98:99], s[2:3], v[74:75]
	v_add_f64 v[28:29], v[22:23], v[18:19]
	v_fma_f64 v[14:15], v[98:99], s[4:5], v[74:75]
	v_add_f64 v[74:75], v[10:11], v[22:23]
	v_fma_f64 v[66:67], v[66:67], -0.5, v[8:9]
	v_add_f64 v[94:95], v[24:25], v[20:21]
	v_fma_f64 v[84:85], v[228:229], v[84:85], -v[96:97]
	v_add_f64 v[4:5], v[4:5], v[16:17]
	v_add_f64 v[96:97], v[24:25], -v[20:21]
	v_fma_f64 v[28:29], v[28:29], -0.5, v[10:11]
	v_add_f64 v[24:25], v[12:13], v[24:25]
	v_add_f64 v[10:11], v[74:75], v[18:19]
	v_fma_f64 v[8:9], v[86:87], s[4:5], v[66:67]
	v_fma_f64 v[16:17], v[86:87], s[2:3], v[66:67]
	v_add_f64 v[66:67], v[90:91], v[38:39]
	v_fma_f64 v[74:75], v[94:95], -0.5, v[12:13]
	v_add_f64 v[86:87], v[22:23], -v[18:19]
	v_fma_f64 v[18:19], v[96:97], s[2:3], v[28:29]
	v_fma_f64 v[22:23], v[96:97], s[4:5], v[28:29]
	v_add_f64 v[28:29], v[30:31], v[90:91]
	v_add_f64 v[12:13], v[24:25], v[20:21]
	v_add_f64 v[94:95], v[26:27], v[40:41]
	v_fma_f64 v[66:67], v[66:67], -0.5, v[30:31]
	v_add_f64 v[96:97], v[26:27], -v[40:41]
	v_fma_f64 v[20:21], v[86:87], s[4:5], v[74:75]
	v_fma_f64 v[24:25], v[86:87], s[2:3], v[74:75]
	v_add_f64 v[74:75], v[32:33], v[26:27]
	v_add_f64 v[86:87], v[46:47], v[42:43]
	;; [unrolled: 7-line block ×3, first 2 shown]
	v_add_f64 v[74:75], v[48:49], v[44:45]
	v_fma_f64 v[86:87], v[86:87], -0.5, v[34:35]
	v_add_f64 v[96:97], v[48:49], -v[44:45]
	v_fma_f64 v[32:33], v[90:91], s[4:5], v[94:95]
	v_add_f64 v[48:49], v[36:37], v[48:49]
	v_fma_f64 v[40:41], v[90:91], s[2:3], v[94:95]
	v_add_f64 v[34:35], v[66:67], v[42:43]
	v_add_f64 v[66:67], v[50:51], v[62:63]
	v_fma_f64 v[74:75], v[74:75], -0.5, v[36:37]
	v_add_f64 v[90:91], v[46:47], -v[42:43]
	v_fma_f64 v[42:43], v[96:97], s[2:3], v[86:87]
	v_fma_f64 v[46:47], v[96:97], s[4:5], v[86:87]
	v_add_f64 v[86:87], v[52:53], v[64:65]
	v_add_f64 v[36:37], v[48:49], v[44:45]
	;; [unrolled: 1-line block ×3, first 2 shown]
	v_fma_f64 v[66:67], v[66:67], -0.5, v[54:55]
	v_add_f64 v[96:97], v[52:53], -v[64:65]
	v_fma_f64 v[44:45], v[90:91], s[4:5], v[74:75]
	v_add_f64 v[98:99], v[92:93], v[88:89]
	v_fma_f64 v[48:49], v[90:91], s[2:3], v[74:75]
	v_add_f64 v[52:53], v[56:57], v[52:53]
	v_fma_f64 v[74:75], v[86:87], -0.5, v[56:57]
	v_add_f64 v[86:87], v[50:51], -v[62:63]
	v_add_f64 v[90:91], v[58:59], v[92:93]
	v_add_f64 v[50:51], v[94:95], v[62:63]
	v_fma_f64 v[54:55], v[96:97], s[2:3], v[66:67]
	v_fma_f64 v[94:95], v[98:99], -0.5, v[58:59]
	v_add_f64 v[98:99], v[76:77], -v[68:69]
	v_fma_f64 v[62:63], v[96:97], s[4:5], v[66:67]
	v_add_f64 v[52:53], v[52:53], v[64:65]
	v_fma_f64 v[56:57], v[86:87], s[4:5], v[74:75]
	v_add_f64 v[96:97], v[76:77], v[68:69]
	;; [unrolled: 2-line block ×3, first 2 shown]
	v_add_f64 v[86:87], v[78:79], v[82:83]
	v_add_f64 v[90:91], v[80:81], v[84:85]
	v_fma_f64 v[66:67], v[98:99], s[2:3], v[94:95]
	v_fma_f64 v[74:75], v[98:99], s[4:5], v[94:95]
	v_add_f64 v[76:77], v[60:61], v[76:77]
	v_fma_f64 v[94:95], v[96:97], -0.5, v[60:61]
	v_add_f64 v[88:89], v[92:93], -v[88:89]
	v_add_f64 v[92:93], v[70:71], v[78:79]
	v_fma_f64 v[86:87], v[86:87], -0.5, v[70:71]
	v_add_f64 v[96:97], v[80:81], -v[84:85]
	;; [unrolled: 3-line block ×3, first 2 shown]
	v_add_f64 v[60:61], v[76:77], v[68:69]
	v_fma_f64 v[68:69], v[88:89], s[4:5], v[94:95]
	v_fma_f64 v[76:77], v[88:89], s[2:3], v[94:95]
	v_add_f64 v[70:71], v[92:93], v[82:83]
	v_fma_f64 v[78:79], v[96:97], s[2:3], v[86:87]
	v_fma_f64 v[82:83], v[96:97], s[4:5], v[86:87]
	;; [unrolled: 3-line block ×3, first 2 shown]
	ds_write_b128 v196, v[2:5]
	ds_write_b128 v196, v[6:9] offset:5824
	ds_write_b128 v196, v[14:17] offset:11648
	;; [unrolled: 1-line block ×20, first 2 shown]
	s_waitcnt lgkmcnt(0)
	; wave barrier
	s_waitcnt lgkmcnt(0)
	ds_read_b128 v[2:5], v196
	ds_read_b128 v[6:9], v196 offset:832
	buffer_load_dword v15, off, s[56:59], 0 offset:408 ; 4-byte Folded Reload
	buffer_load_dword v16, off, s[56:59], 0 offset:412 ; 4-byte Folded Reload
	;; [unrolled: 1-line block ×4, first 2 shown]
	v_mov_b32_e32 v24, s13
	s_waitcnt lgkmcnt(1)
	v_mad_u64_u32 v[12:13], s[2:3], s11, v106, v[1:2]
	v_mov_b32_e32 v1, v12
	v_lshlrev_b64 v[0:1], 4, v[0:1]
	v_add_co_u32_e32 v25, vcc, s12, v0
	v_addc_co_u32_e32 v24, vcc, v24, v1, vcc
	s_waitcnt vmcnt(0)
	v_mul_f64 v[10:11], v[17:18], v[4:5]
	v_mul_f64 v[13:14], v[17:18], v[2:3]
	v_fma_f64 v[10:11], v[15:16], v[2:3], v[10:11]
	buffer_load_dword v3, off, s[56:59], 0  ; 4-byte Folded Reload
	v_fma_f64 v[12:13], v[15:16], v[4:5], -v[13:14]
	s_waitcnt vmcnt(0)
	v_mad_u64_u32 v[18:19], s[2:3], s8, v3, 0
	s_mov_b32 s2, 0x1e01e01e
	s_mov_b32 s3, 0x3f4e01e0
	v_mov_b32_e32 v2, v19
	v_mad_u64_u32 v[14:15], s[4:5], s9, v3, v[2:3]
	ds_read_b128 v[2:5], v196 offset:8736
	v_mul_f64 v[10:11], v[10:11], s[2:3]
	v_mov_b32_e32 v19, v14
	ds_read_b128 v[14:17], v196 offset:9568
	buffer_load_dword v26, off, s[56:59], 0 offset:184 ; 4-byte Folded Reload
	buffer_load_dword v27, off, s[56:59], 0 offset:188 ; 4-byte Folded Reload
	;; [unrolled: 1-line block ×4, first 2 shown]
	v_mul_f64 v[12:13], v[12:13], s[2:3]
	s_mul_i32 s4, s9, 0x222
	s_mul_hi_u32 s5, s8, 0x222
	s_add_i32 s5, s5, s4
	s_mul_i32 s4, s8, 0x222
	s_lshl_b64 s[4:5], s[4:5], 4
	s_waitcnt vmcnt(0) lgkmcnt(1)
	v_mul_f64 v[20:21], v[28:29], v[4:5]
	v_mul_f64 v[22:23], v[28:29], v[2:3]
	v_fma_f64 v[0:1], v[26:27], v[2:3], v[20:21]
	v_lshlrev_b64 v[2:3], 4, v[18:19]
	v_fma_f64 v[4:5], v[26:27], v[4:5], -v[22:23]
	v_add_co_u32_e32 v18, vcc, v25, v2
	v_addc_co_u32_e32 v19, vcc, v24, v3, vcc
	global_store_dwordx4 v[18:19], v[10:13], off
	buffer_load_dword v20, off, s[56:59], 0 offset:360 ; 4-byte Folded Reload
	buffer_load_dword v21, off, s[56:59], 0 offset:364 ; 4-byte Folded Reload
	;; [unrolled: 1-line block ×4, first 2 shown]
	v_mul_f64 v[2:3], v[0:1], s[2:3]
	v_mul_f64 v[4:5], v[4:5], s[2:3]
	v_add_co_u32_e32 v18, vcc, s4, v18
	s_waitcnt vmcnt(0)
	v_mul_f64 v[0:1], v[22:23], v[8:9]
	v_mul_f64 v[10:11], v[22:23], v[6:7]
	v_fma_f64 v[6:7], v[20:21], v[6:7], v[0:1]
	v_mov_b32_e32 v1, s5
	v_addc_co_u32_e32 v19, vcc, v19, v1, vcc
	global_store_dwordx4 v[18:19], v[2:5], off
	v_fma_f64 v[8:9], v[20:21], v[8:9], -v[10:11]
	buffer_load_dword v20, off, s[56:59], 0 offset:328 ; 4-byte Folded Reload
	buffer_load_dword v21, off, s[56:59], 0 offset:332 ; 4-byte Folded Reload
	;; [unrolled: 1-line block ×4, first 2 shown]
	v_mov_b32_e32 v0, s7
	v_mul_f64 v[2:3], v[6:7], s[2:3]
	v_add_co_u32_e32 v18, vcc, s6, v18
	v_addc_co_u32_e32 v19, vcc, v19, v0, vcc
	v_mul_f64 v[4:5], v[8:9], s[2:3]
	ds_read_b128 v[6:9], v196 offset:1664
	s_waitcnt vmcnt(0) lgkmcnt(1)
	v_mul_f64 v[10:11], v[22:23], v[16:17]
	v_mul_f64 v[12:13], v[22:23], v[14:15]
	v_fma_f64 v[14:15], v[20:21], v[14:15], v[10:11]
	v_fma_f64 v[20:21], v[20:21], v[16:17], -v[12:13]
	ds_read_b128 v[10:13], v196 offset:2496
	buffer_load_dword v26, off, s[56:59], 0 offset:152 ; 4-byte Folded Reload
	buffer_load_dword v27, off, s[56:59], 0 offset:156 ; 4-byte Folded Reload
	;; [unrolled: 1-line block ×4, first 2 shown]
	s_waitcnt vmcnt(0) lgkmcnt(1)
	v_mul_f64 v[22:23], v[28:29], v[8:9]
	v_mul_f64 v[24:25], v[28:29], v[6:7]
	global_store_dwordx4 v[18:19], v[2:5], off
	v_add_co_u32_e32 v18, vcc, s4, v18
	v_mul_f64 v[2:3], v[14:15], s[2:3]
	ds_read_b128 v[14:17], v196 offset:10400
	v_mul_f64 v[4:5], v[20:21], s[2:3]
	v_fma_f64 v[20:21], v[26:27], v[6:7], v[22:23]
	v_fma_f64 v[22:23], v[26:27], v[8:9], -v[24:25]
	ds_read_b128 v[6:9], v196 offset:11232
	buffer_load_dword v28, off, s[56:59], 0 offset:296 ; 4-byte Folded Reload
	buffer_load_dword v29, off, s[56:59], 0 offset:300 ; 4-byte Folded Reload
	;; [unrolled: 1-line block ×4, first 2 shown]
	v_addc_co_u32_e32 v19, vcc, v19, v1, vcc
	global_store_dwordx4 v[18:19], v[2:5], off
	s_nop 0
	v_mul_f64 v[2:3], v[20:21], s[2:3]
	v_mul_f64 v[4:5], v[22:23], s[2:3]
	v_add_co_u32_e32 v18, vcc, s6, v18
	v_addc_co_u32_e32 v19, vcc, v19, v0, vcc
	s_waitcnt vmcnt(1) lgkmcnt(1)
	v_mul_f64 v[24:25], v[30:31], v[16:17]
	v_mul_f64 v[26:27], v[30:31], v[14:15]
	v_fma_f64 v[14:15], v[28:29], v[14:15], v[24:25]
	v_fma_f64 v[16:17], v[28:29], v[16:17], -v[26:27]
	buffer_load_dword v24, off, s[56:59], 0 offset:264 ; 4-byte Folded Reload
	buffer_load_dword v25, off, s[56:59], 0 offset:268 ; 4-byte Folded Reload
	buffer_load_dword v26, off, s[56:59], 0 offset:272 ; 4-byte Folded Reload
	buffer_load_dword v27, off, s[56:59], 0 offset:276 ; 4-byte Folded Reload
	s_waitcnt vmcnt(0)
	v_mul_f64 v[20:21], v[26:27], v[12:13]
	v_mul_f64 v[22:23], v[26:27], v[10:11]
	global_store_dwordx4 v[18:19], v[2:5], off
	v_add_co_u32_e32 v18, vcc, s4, v18
	v_mul_f64 v[2:3], v[14:15], s[2:3]
	v_mul_f64 v[4:5], v[16:17], s[2:3]
	v_addc_co_u32_e32 v19, vcc, v19, v1, vcc
	v_fma_f64 v[10:11], v[24:25], v[10:11], v[20:21]
	v_fma_f64 v[14:15], v[24:25], v[12:13], -v[22:23]
	buffer_load_dword v22, off, s[56:59], 0 offset:232 ; 4-byte Folded Reload
	buffer_load_dword v23, off, s[56:59], 0 offset:236 ; 4-byte Folded Reload
	buffer_load_dword v24, off, s[56:59], 0 offset:240 ; 4-byte Folded Reload
	buffer_load_dword v25, off, s[56:59], 0 offset:244 ; 4-byte Folded Reload
	s_waitcnt vmcnt(0) lgkmcnt(0)
	v_mul_f64 v[16:17], v[24:25], v[8:9]
	v_mul_f64 v[20:21], v[24:25], v[6:7]
	global_store_dwordx4 v[18:19], v[2:5], off
	v_add_co_u32_e32 v18, vcc, s6, v18
	v_mul_f64 v[2:3], v[10:11], s[2:3]
	ds_read_b128 v[10:13], v196 offset:3328
	v_mul_f64 v[4:5], v[14:15], s[2:3]
	v_fma_f64 v[14:15], v[22:23], v[6:7], v[16:17]
	v_fma_f64 v[20:21], v[22:23], v[8:9], -v[20:21]
	ds_read_b128 v[6:9], v196 offset:4160
	buffer_load_dword v26, off, s[56:59], 0 offset:280 ; 4-byte Folded Reload
	buffer_load_dword v27, off, s[56:59], 0 offset:284 ; 4-byte Folded Reload
	buffer_load_dword v28, off, s[56:59], 0 offset:288 ; 4-byte Folded Reload
	buffer_load_dword v29, off, s[56:59], 0 offset:292 ; 4-byte Folded Reload
	v_addc_co_u32_e32 v19, vcc, v19, v0, vcc
	global_store_dwordx4 v[18:19], v[2:5], off
	s_nop 0
	v_mul_f64 v[2:3], v[14:15], s[2:3]
	ds_read_b128 v[14:17], v196 offset:12064
	v_mul_f64 v[4:5], v[20:21], s[2:3]
	v_add_co_u32_e32 v18, vcc, s4, v18
	v_addc_co_u32_e32 v19, vcc, v19, v1, vcc
	s_waitcnt vmcnt(1) lgkmcnt(2)
	v_mul_f64 v[22:23], v[28:29], v[12:13]
	v_mul_f64 v[24:25], v[28:29], v[10:11]
	v_fma_f64 v[20:21], v[26:27], v[10:11], v[22:23]
	v_fma_f64 v[22:23], v[26:27], v[12:13], -v[24:25]
	ds_read_b128 v[10:13], v196 offset:12896
	buffer_load_dword v28, off, s[56:59], 0 offset:216 ; 4-byte Folded Reload
	buffer_load_dword v29, off, s[56:59], 0 offset:220 ; 4-byte Folded Reload
	buffer_load_dword v30, off, s[56:59], 0 offset:224 ; 4-byte Folded Reload
	buffer_load_dword v31, off, s[56:59], 0 offset:228 ; 4-byte Folded Reload
	s_waitcnt vmcnt(0) lgkmcnt(1)
	v_mul_f64 v[24:25], v[30:31], v[16:17]
	v_mul_f64 v[26:27], v[30:31], v[14:15]
	global_store_dwordx4 v[18:19], v[2:5], off
	v_add_co_u32_e32 v18, vcc, s6, v18
	v_mul_f64 v[2:3], v[20:21], s[2:3]
	v_mul_f64 v[4:5], v[22:23], s[2:3]
	v_addc_co_u32_e32 v19, vcc, v19, v0, vcc
	v_fma_f64 v[14:15], v[28:29], v[14:15], v[24:25]
	v_fma_f64 v[16:17], v[28:29], v[16:17], -v[26:27]
	buffer_load_dword v24, off, s[56:59], 0 offset:424 ; 4-byte Folded Reload
	buffer_load_dword v25, off, s[56:59], 0 offset:428 ; 4-byte Folded Reload
	buffer_load_dword v26, off, s[56:59], 0 offset:432 ; 4-byte Folded Reload
	buffer_load_dword v27, off, s[56:59], 0 offset:436 ; 4-byte Folded Reload
	s_waitcnt vmcnt(0)
	v_mul_f64 v[20:21], v[26:27], v[8:9]
	v_mul_f64 v[22:23], v[26:27], v[6:7]
	global_store_dwordx4 v[18:19], v[2:5], off
	v_add_co_u32_e32 v18, vcc, s4, v18
	v_mul_f64 v[2:3], v[14:15], s[2:3]
	v_mul_f64 v[4:5], v[16:17], s[2:3]
	v_addc_co_u32_e32 v19, vcc, v19, v1, vcc
	v_fma_f64 v[6:7], v[24:25], v[6:7], v[20:21]
	v_fma_f64 v[14:15], v[24:25], v[8:9], -v[22:23]
	buffer_load_dword v22, off, s[56:59], 0 offset:376 ; 4-byte Folded Reload
	buffer_load_dword v23, off, s[56:59], 0 offset:380 ; 4-byte Folded Reload
	buffer_load_dword v24, off, s[56:59], 0 offset:384 ; 4-byte Folded Reload
	buffer_load_dword v25, off, s[56:59], 0 offset:388 ; 4-byte Folded Reload
	s_waitcnt vmcnt(0) lgkmcnt(0)
	v_mul_f64 v[16:17], v[24:25], v[12:13]
	v_mul_f64 v[20:21], v[24:25], v[10:11]
	global_store_dwordx4 v[18:19], v[2:5], off
	v_add_co_u32_e32 v18, vcc, s6, v18
	v_mul_f64 v[2:3], v[6:7], s[2:3]
	ds_read_b128 v[6:9], v196 offset:4992
	v_mul_f64 v[4:5], v[14:15], s[2:3]
	v_fma_f64 v[14:15], v[22:23], v[10:11], v[16:17]
	v_fma_f64 v[20:21], v[22:23], v[12:13], -v[20:21]
	ds_read_b128 v[10:13], v196 offset:5824
	buffer_load_dword v26, off, s[56:59], 0 offset:248 ; 4-byte Folded Reload
	buffer_load_dword v27, off, s[56:59], 0 offset:252 ; 4-byte Folded Reload
	buffer_load_dword v28, off, s[56:59], 0 offset:256 ; 4-byte Folded Reload
	buffer_load_dword v29, off, s[56:59], 0 offset:260 ; 4-byte Folded Reload
	v_addc_co_u32_e32 v19, vcc, v19, v0, vcc
	global_store_dwordx4 v[18:19], v[2:5], off
	s_nop 0
	v_mul_f64 v[2:3], v[14:15], s[2:3]
	ds_read_b128 v[14:17], v196 offset:13728
	v_mul_f64 v[4:5], v[20:21], s[2:3]
	v_add_co_u32_e32 v18, vcc, s4, v18
	v_addc_co_u32_e32 v19, vcc, v19, v1, vcc
	s_waitcnt vmcnt(1) lgkmcnt(2)
	v_mul_f64 v[22:23], v[28:29], v[8:9]
	v_mul_f64 v[24:25], v[28:29], v[6:7]
	v_fma_f64 v[20:21], v[26:27], v[6:7], v[22:23]
	v_fma_f64 v[22:23], v[26:27], v[8:9], -v[24:25]
	ds_read_b128 v[6:9], v196 offset:14560
	buffer_load_dword v28, off, s[56:59], 0 offset:200 ; 4-byte Folded Reload
	buffer_load_dword v29, off, s[56:59], 0 offset:204 ; 4-byte Folded Reload
	buffer_load_dword v30, off, s[56:59], 0 offset:208 ; 4-byte Folded Reload
	buffer_load_dword v31, off, s[56:59], 0 offset:212 ; 4-byte Folded Reload
	s_waitcnt vmcnt(0) lgkmcnt(1)
	v_mul_f64 v[24:25], v[30:31], v[16:17]
	v_mul_f64 v[26:27], v[30:31], v[14:15]
	global_store_dwordx4 v[18:19], v[2:5], off
	v_add_co_u32_e32 v18, vcc, s6, v18
	v_mul_f64 v[2:3], v[20:21], s[2:3]
	v_mul_f64 v[4:5], v[22:23], s[2:3]
	v_addc_co_u32_e32 v19, vcc, v19, v0, vcc
	;; [unrolled: 61-line block ×3, first 2 shown]
	v_fma_f64 v[14:15], v[28:29], v[14:15], v[24:25]
	v_fma_f64 v[16:17], v[28:29], v[16:17], -v[26:27]
	buffer_load_dword v28, off, s[56:59], 0 offset:168 ; 4-byte Folded Reload
	buffer_load_dword v29, off, s[56:59], 0 offset:172 ; 4-byte Folded Reload
	;; [unrolled: 1-line block ×4, first 2 shown]
	s_waitcnt vmcnt(0)
	v_mul_f64 v[20:21], v[30:31], v[8:9]
	v_mul_f64 v[22:23], v[30:31], v[6:7]
	buffer_load_dword v30, off, s[56:59], 0 offset:344 ; 4-byte Folded Reload
	buffer_load_dword v31, off, s[56:59], 0 offset:348 ; 4-byte Folded Reload
	;; [unrolled: 1-line block ×4, first 2 shown]
	v_fma_f64 v[6:7], v[28:29], v[6:7], v[20:21]
	global_store_dwordx4 v[18:19], v[2:5], off
	v_fma_f64 v[8:9], v[28:29], v[8:9], -v[22:23]
	v_mul_f64 v[2:3], v[14:15], s[2:3]
	v_mul_f64 v[4:5], v[16:17], s[2:3]
	v_add_co_u32_e32 v14, vcc, s4, v18
	v_addc_co_u32_e32 v15, vcc, v19, v1, vcc
	v_mul_f64 v[6:7], v[6:7], s[2:3]
	v_mul_f64 v[8:9], v[8:9], s[2:3]
	global_store_dwordx4 v[14:15], v[2:5], off
	s_waitcnt vmcnt(2) lgkmcnt(0)
	v_mul_f64 v[24:25], v[32:33], v[12:13]
	v_mul_f64 v[26:27], v[32:33], v[10:11]
	v_fma_f64 v[10:11], v[30:31], v[10:11], v[24:25]
	v_fma_f64 v[12:13], v[30:31], v[12:13], -v[26:27]
	v_mul_f64 v[2:3], v[10:11], s[2:3]
	v_mul_f64 v[4:5], v[12:13], s[2:3]
	v_add_co_u32_e32 v10, vcc, s6, v14
	v_addc_co_u32_e32 v11, vcc, v15, v0, vcc
	v_add_co_u32_e32 v0, vcc, s4, v10
	v_addc_co_u32_e32 v1, vcc, v11, v1, vcc
	global_store_dwordx4 v[10:11], v[6:9], off
	global_store_dwordx4 v[0:1], v[2:5], off
	s_and_b64 exec, exec, s[0:1]
	s_cbranch_execz .LBB0_31
; %bb.30:
	buffer_load_dword v16, off, s[56:59], 0 offset:4 ; 4-byte Folded Reload
	buffer_load_dword v17, off, s[56:59], 0 offset:108 ; 4-byte Folded Reload
	s_movk_i32 s0, 0x4000
	s_waitcnt vmcnt(1)
	v_add_co_u32_e32 v2, vcc, 0x2000, v16
	s_waitcnt vmcnt(0)
	v_addc_co_u32_e32 v3, vcc, 0, v17, vcc
	global_load_dwordx4 v[2:5], v[2:3], off offset:128
	ds_read_b128 v[6:9], v196 offset:8320
	ds_read_b128 v[10:13], v196 offset:17056
	s_waitcnt vmcnt(0) lgkmcnt(1)
	v_mul_f64 v[14:15], v[8:9], v[4:5]
	v_mul_f64 v[4:5], v[6:7], v[4:5]
	v_fma_f64 v[6:7], v[6:7], v[2:3], v[14:15]
	v_fma_f64 v[4:5], v[2:3], v[8:9], -v[4:5]
	v_mov_b32_e32 v8, s7
	v_mul_f64 v[2:3], v[6:7], s[2:3]
	v_mul_f64 v[4:5], v[4:5], s[2:3]
	v_add_co_u32_e32 v6, vcc, s6, v0
	v_addc_co_u32_e32 v7, vcc, v1, v8, vcc
	v_add_co_u32_e32 v0, vcc, s0, v16
	v_addc_co_u32_e32 v1, vcc, 0, v17, vcc
	global_store_dwordx4 v[6:7], v[2:5], off
	global_load_dwordx4 v[0:3], v[0:1], off offset:672
	s_waitcnt vmcnt(0) lgkmcnt(0)
	v_mul_f64 v[4:5], v[12:13], v[2:3]
	v_mul_f64 v[2:3], v[10:11], v[2:3]
	v_fma_f64 v[4:5], v[10:11], v[0:1], v[4:5]
	v_fma_f64 v[2:3], v[0:1], v[12:13], -v[2:3]
	v_mul_f64 v[0:1], v[4:5], s[2:3]
	v_mul_f64 v[2:3], v[2:3], s[2:3]
	v_mov_b32_e32 v5, s5
	v_add_co_u32_e32 v4, vcc, s4, v6
	v_addc_co_u32_e32 v5, vcc, v7, v5, vcc
	global_store_dwordx4 v[4:5], v[0:3], off
.LBB0_31:
	s_endpgm
	.section	.rodata,"a",@progbits
	.p2align	6, 0x0
	.amdhsa_kernel bluestein_single_back_len1092_dim1_dp_op_CI_CI
		.amdhsa_group_segment_fixed_size 17472
		.amdhsa_private_segment_fixed_size 928
		.amdhsa_kernarg_size 104
		.amdhsa_user_sgpr_count 6
		.amdhsa_user_sgpr_private_segment_buffer 1
		.amdhsa_user_sgpr_dispatch_ptr 0
		.amdhsa_user_sgpr_queue_ptr 0
		.amdhsa_user_sgpr_kernarg_segment_ptr 1
		.amdhsa_user_sgpr_dispatch_id 0
		.amdhsa_user_sgpr_flat_scratch_init 0
		.amdhsa_user_sgpr_private_segment_size 0
		.amdhsa_uses_dynamic_stack 0
		.amdhsa_system_sgpr_private_segment_wavefront_offset 1
		.amdhsa_system_sgpr_workgroup_id_x 1
		.amdhsa_system_sgpr_workgroup_id_y 0
		.amdhsa_system_sgpr_workgroup_id_z 0
		.amdhsa_system_sgpr_workgroup_info 0
		.amdhsa_system_vgpr_workitem_id 0
		.amdhsa_next_free_vgpr 256
		.amdhsa_next_free_sgpr 60
		.amdhsa_reserve_vcc 1
		.amdhsa_reserve_flat_scratch 0
		.amdhsa_float_round_mode_32 0
		.amdhsa_float_round_mode_16_64 0
		.amdhsa_float_denorm_mode_32 3
		.amdhsa_float_denorm_mode_16_64 3
		.amdhsa_dx10_clamp 1
		.amdhsa_ieee_mode 1
		.amdhsa_fp16_overflow 0
		.amdhsa_exception_fp_ieee_invalid_op 0
		.amdhsa_exception_fp_denorm_src 0
		.amdhsa_exception_fp_ieee_div_zero 0
		.amdhsa_exception_fp_ieee_overflow 0
		.amdhsa_exception_fp_ieee_underflow 0
		.amdhsa_exception_fp_ieee_inexact 0
		.amdhsa_exception_int_div_zero 0
	.end_amdhsa_kernel
	.text
.Lfunc_end0:
	.size	bluestein_single_back_len1092_dim1_dp_op_CI_CI, .Lfunc_end0-bluestein_single_back_len1092_dim1_dp_op_CI_CI
                                        ; -- End function
	.section	.AMDGPU.csdata,"",@progbits
; Kernel info:
; codeLenInByte = 40972
; NumSgprs: 64
; NumVgprs: 256
; ScratchSize: 928
; MemoryBound: 0
; FloatMode: 240
; IeeeMode: 1
; LDSByteSize: 17472 bytes/workgroup (compile time only)
; SGPRBlocks: 7
; VGPRBlocks: 63
; NumSGPRsForWavesPerEU: 64
; NumVGPRsForWavesPerEU: 256
; Occupancy: 1
; WaveLimiterHint : 1
; COMPUTE_PGM_RSRC2:SCRATCH_EN: 1
; COMPUTE_PGM_RSRC2:USER_SGPR: 6
; COMPUTE_PGM_RSRC2:TRAP_HANDLER: 0
; COMPUTE_PGM_RSRC2:TGID_X_EN: 1
; COMPUTE_PGM_RSRC2:TGID_Y_EN: 0
; COMPUTE_PGM_RSRC2:TGID_Z_EN: 0
; COMPUTE_PGM_RSRC2:TIDIG_COMP_CNT: 0
	.type	__hip_cuid_3d27caa6e4e95e87,@object ; @__hip_cuid_3d27caa6e4e95e87
	.section	.bss,"aw",@nobits
	.globl	__hip_cuid_3d27caa6e4e95e87
__hip_cuid_3d27caa6e4e95e87:
	.byte	0                               ; 0x0
	.size	__hip_cuid_3d27caa6e4e95e87, 1

	.ident	"AMD clang version 19.0.0git (https://github.com/RadeonOpenCompute/llvm-project roc-6.4.0 25133 c7fe45cf4b819c5991fe208aaa96edf142730f1d)"
	.section	".note.GNU-stack","",@progbits
	.addrsig
	.addrsig_sym __hip_cuid_3d27caa6e4e95e87
	.amdgpu_metadata
---
amdhsa.kernels:
  - .args:
      - .actual_access:  read_only
        .address_space:  global
        .offset:         0
        .size:           8
        .value_kind:     global_buffer
      - .actual_access:  read_only
        .address_space:  global
        .offset:         8
        .size:           8
        .value_kind:     global_buffer
      - .actual_access:  read_only
        .address_space:  global
        .offset:         16
        .size:           8
        .value_kind:     global_buffer
      - .actual_access:  read_only
        .address_space:  global
        .offset:         24
        .size:           8
        .value_kind:     global_buffer
      - .actual_access:  read_only
        .address_space:  global
        .offset:         32
        .size:           8
        .value_kind:     global_buffer
      - .offset:         40
        .size:           8
        .value_kind:     by_value
      - .address_space:  global
        .offset:         48
        .size:           8
        .value_kind:     global_buffer
      - .address_space:  global
        .offset:         56
        .size:           8
        .value_kind:     global_buffer
      - .address_space:  global
        .offset:         64
        .size:           8
        .value_kind:     global_buffer
      - .address_space:  global
        .offset:         72
        .size:           8
        .value_kind:     global_buffer
      - .offset:         80
        .size:           4
        .value_kind:     by_value
      - .address_space:  global
        .offset:         88
        .size:           8
        .value_kind:     global_buffer
      - .address_space:  global
        .offset:         96
        .size:           8
        .value_kind:     global_buffer
    .group_segment_fixed_size: 17472
    .kernarg_segment_align: 8
    .kernarg_segment_size: 104
    .language:       OpenCL C
    .language_version:
      - 2
      - 0
    .max_flat_workgroup_size: 52
    .name:           bluestein_single_back_len1092_dim1_dp_op_CI_CI
    .private_segment_fixed_size: 928
    .sgpr_count:     64
    .sgpr_spill_count: 0
    .symbol:         bluestein_single_back_len1092_dim1_dp_op_CI_CI.kd
    .uniform_work_group_size: 1
    .uses_dynamic_stack: false
    .vgpr_count:     256
    .vgpr_spill_count: 264
    .wavefront_size: 64
amdhsa.target:   amdgcn-amd-amdhsa--gfx906
amdhsa.version:
  - 1
  - 2
...

	.end_amdgpu_metadata
